;; amdgpu-corpus repo=ROCm/rocFFT kind=compiled arch=gfx906 opt=O3
	.text
	.amdgcn_target "amdgcn-amd-amdhsa--gfx906"
	.amdhsa_code_object_version 6
	.protected	bluestein_single_fwd_len432_dim1_dp_op_CI_CI ; -- Begin function bluestein_single_fwd_len432_dim1_dp_op_CI_CI
	.globl	bluestein_single_fwd_len432_dim1_dp_op_CI_CI
	.p2align	8
	.type	bluestein_single_fwd_len432_dim1_dp_op_CI_CI,@function
bluestein_single_fwd_len432_dim1_dp_op_CI_CI: ; @bluestein_single_fwd_len432_dim1_dp_op_CI_CI
; %bb.0:
	s_load_dwordx4 s[12:15], s[4:5], 0x28
	v_mul_u32_u24_e32 v1, 0x97c, v0
	s_mov_b64 s[26:27], s[2:3]
	v_lshrrev_b32_e32 v4, 16, v1
	s_mov_b64 s[24:25], s[0:1]
	v_lshl_add_u32 v5, s6, 1, v4
	v_mov_b32_e32 v6, 0
	s_add_u32 s24, s24, s7
	s_waitcnt lgkmcnt(0)
	v_cmp_gt_u64_e32 vcc, s[12:13], v[5:6]
	s_addc_u32 s25, s25, 0
	s_and_saveexec_b64 s[0:1], vcc
	s_cbranch_execz .LBB0_31
; %bb.1:
	s_load_dwordx4 s[0:3], s[4:5], 0x18
	s_load_dwordx2 s[12:13], s[4:5], 0x0
	v_mul_lo_u16_e32 v1, 27, v4
	v_sub_u16_e32 v38, v0, v1
	v_mov_b32_e32 v6, v5
	s_waitcnt lgkmcnt(0)
	s_load_dwordx4 s[8:11], s[0:1], 0x0
	buffer_store_dword v6, off, s[24:27], 0 offset:80 ; 4-byte Folded Spill
	s_nop 0
	buffer_store_dword v7, off, s[24:27], 0 offset:84 ; 4-byte Folded Spill
	v_lshlrev_b32_e32 v202, 4, v38
	v_or_b32_e32 v19, 0x120, v38
	v_lshlrev_b32_e32 v248, 4, v19
	s_waitcnt lgkmcnt(0)
	v_mad_u64_u32 v[0:1], s[0:1], s10, v5, 0
	v_mad_u64_u32 v[2:3], s[0:1], s8, v38, 0
	v_mov_b32_e32 v37, 0x1b0
	v_mad_u64_u32 v[5:6], s[0:1], s11, v5, v[1:2]
	v_mad_u64_u32 v[6:7], s[0:1], s9, v38, v[3:4]
	v_mov_b32_e32 v1, v5
	v_lshlrev_b64 v[0:1], 4, v[0:1]
	v_mov_b32_e32 v3, v6
	v_mov_b32_e32 v7, s15
	v_lshlrev_b64 v[2:3], 4, v[2:3]
	v_add_co_u32_e32 v15, vcc, s14, v0
	v_addc_co_u32_e32 v16, vcc, v7, v1, vcc
	v_add_co_u32_e32 v0, vcc, v15, v2
	v_addc_co_u32_e32 v1, vcc, v16, v3, vcc
	s_mul_i32 s0, s9, 0x90
	s_mul_hi_u32 s1, s8, 0x90
	v_mov_b32_e32 v2, s13
	v_add_co_u32_e32 v29, vcc, s12, v202
	s_add_i32 s1, s1, s0
	s_mul_i32 s0, s8, 0x90
	v_addc_co_u32_e32 v30, vcc, 0, v2, vcc
	s_lshl_b64 s[14:15], s[0:1], 4
	v_mad_u64_u32 v[2:3], s[0:1], s8, v19, 0
	v_mov_b32_e32 v33, s15
	v_add_co_u32_e32 v17, vcc, s14, v0
	v_mad_u64_u32 v[13:14], s[0:1], s9, v19, v[3:4]
	v_addc_co_u32_e32 v18, vcc, v1, v33, vcc
	v_mov_b32_e32 v3, v13
	global_load_dwordx4 v[5:8], v[0:1], off
	global_load_dwordx4 v[9:12], v[17:18], off
	global_load_dwordx4 v[47:50], v202, s[12:13] offset:2304
	v_lshlrev_b64 v[0:1], 4, v[2:3]
	buffer_store_dword v19, off, s[24:27], 0 offset:12 ; 4-byte Folded Spill
	v_add_co_u32_e32 v0, vcc, v15, v0
	v_addc_co_u32_e32 v1, vcc, v16, v1, vcc
	global_load_dwordx4 v[13:16], v[0:1], off
	v_mov_b32_e32 v0, 0xfffff8b0
	v_mad_u64_u32 v[0:1], s[0:1], s8, v0, v[17:18]
	s_mul_i32 s0, s9, 0xfffff8b0
	s_sub_i32 s0, s0, s8
	v_add_u32_e32 v1, s0, v1
	global_load_dwordx4 v[51:54], v248, s[12:13]
	global_load_dwordx4 v[17:20], v[0:1], off
	global_load_dwordx4 v[92:95], v202, s[12:13]
	global_load_dwordx4 v[55:58], v202, s[12:13] offset:432
	v_add_co_u32_e32 v0, vcc, s14, v0
	v_addc_co_u32_e32 v1, vcc, v1, v33, vcc
	v_add_co_u32_e32 v2, vcc, s14, v0
	v_addc_co_u32_e32 v3, vcc, v1, v33, vcc
	s_movk_i32 s0, 0x1000
	global_load_dwordx4 v[21:24], v[0:1], off
	global_load_dwordx4 v[25:28], v[2:3], off
	v_add_co_u32_e32 v0, vcc, s0, v29
	buffer_store_dword v29, off, s[24:27], 0 offset:4 ; 4-byte Folded Spill
	s_nop 0
	buffer_store_dword v30, off, s[24:27], 0 offset:8 ; 4-byte Folded Spill
	s_mul_hi_u32 s1, s8, 0xfffffefb
	s_mul_i32 s0, s9, 0xfffffefb
	s_sub_i32 s1, s1, s8
	s_add_i32 s1, s1, s0
	s_mul_i32 s0, s8, 0xfffffefb
	s_lshl_b64 s[0:1], s[0:1], 4
	v_mov_b32_e32 v34, s1
	v_and_b32_e32 v4, 1, v4
	s_waitcnt vmcnt(10)
	v_mul_f64 v[39:40], v[11:12], v[49:50]
	v_mul_f64 v[41:42], v[9:10], v[49:50]
	s_waitcnt vmcnt(5)
	v_mul_f64 v[35:36], v[5:6], v[94:95]
	v_mul_f64 v[43:44], v[15:16], v[53:54]
	;; [unrolled: 1-line block ×3, first 2 shown]
	v_addc_co_u32_e32 v1, vcc, 0, v30, vcc
	v_add_co_u32_e32 v2, vcc, s0, v2
	v_addc_co_u32_e32 v3, vcc, v3, v34, vcc
	global_load_dwordx4 v[96:99], v[0:1], off offset:944
	global_load_dwordx4 v[29:32], v[2:3], off
	global_load_dwordx4 v[100:103], v202, s[12:13] offset:864
	v_add_co_u32_e32 v2, vcc, s14, v2
	v_addc_co_u32_e32 v3, vcc, v3, v33, vcc
	global_load_dwordx4 v[116:119], v202, s[12:13] offset:2736
	global_load_dwordx4 v[60:63], v[2:3], off
	global_load_dwordx4 v[104:107], v202, s[12:13] offset:3168
	v_add_co_u32_e32 v2, vcc, s14, v2
	v_addc_co_u32_e32 v3, vcc, v3, v33, vcc
	global_load_dwordx4 v[64:67], v[2:3], off
	global_load_dwordx4 v[108:111], v[0:1], off offset:1376
	v_add_co_u32_e32 v2, vcc, s0, v2
	v_addc_co_u32_e32 v3, vcc, v3, v34, vcc
	global_load_dwordx4 v[68:71], v[2:3], off
	global_load_dwordx4 v[120:123], v202, s[12:13] offset:1296
	v_add_co_u32_e32 v2, vcc, s14, v2
	v_addc_co_u32_e32 v3, vcc, v3, v33, vcc
	global_load_dwordx4 v[72:75], v[2:3], off
	global_load_dwordx4 v[112:115], v202, s[12:13] offset:3600
	v_add_co_u32_e32 v2, vcc, s14, v2
	v_addc_co_u32_e32 v3, vcc, v3, v33, vcc
	global_load_dwordx4 v[76:79], v[2:3], off
	global_load_dwordx4 v[128:131], v[0:1], off offset:1808
	v_add_co_u32_e32 v2, vcc, s0, v2
	v_addc_co_u32_e32 v3, vcc, v3, v34, vcc
	global_load_dwordx4 v[80:83], v[2:3], off
	global_load_dwordx4 v[124:127], v202, s[12:13] offset:1728
	v_add_co_u32_e32 v2, vcc, s14, v2
	v_addc_co_u32_e32 v3, vcc, v3, v33, vcc
	global_load_dwordx4 v[84:87], v[2:3], off
	global_load_dwordx4 v[132:135], v202, s[12:13] offset:4032
	v_add_co_u32_e32 v2, vcc, s14, v2
	v_addc_co_u32_e32 v3, vcc, v3, v33, vcc
	v_mul_f64 v[33:34], v[7:8], v[94:95]
	global_load_dwordx4 v[88:91], v[2:3], off
	global_load_dwordx4 v[136:139], v[0:1], off offset:2240
	s_load_dwordx2 s[6:7], s[4:5], 0x38
	s_load_dwordx4 s[8:11], s[2:3], 0x0
	v_cmp_eq_u32_e32 vcc, 1, v4
	v_cndmask_b32_e32 v203, 0, v37, vcc
	v_lshlrev_b32_e32 v37, 4, v203
	v_cmp_gt_u16_e32 vcc, 9, v38
	v_fma_f64 v[4:5], v[5:6], v[92:93], v[33:34]
	buffer_store_dword v92, off, s[24:27], 0 offset:248 ; 4-byte Folded Spill
	s_nop 0
	buffer_store_dword v93, off, s[24:27], 0 offset:252 ; 4-byte Folded Spill
	buffer_store_dword v94, off, s[24:27], 0 offset:256 ; 4-byte Folded Spill
	;; [unrolled: 1-line block ×3, first 2 shown]
	s_waitcnt vmcnt(28)
	v_mul_f64 v[33:34], v[19:20], v[57:58]
	s_waitcnt vmcnt(21)
	v_mul_f64 v[94:95], v[29:30], v[102:103]
	v_fma_f64 v[6:7], v[7:8], v[92:93], -v[35:36]
	v_fma_f64 v[8:9], v[9:10], v[47:48], v[39:40]
	buffer_store_dword v47, off, s[24:27], 0 offset:16 ; 4-byte Folded Spill
	s_nop 0
	buffer_store_dword v48, off, s[24:27], 0 offset:20 ; 4-byte Folded Spill
	buffer_store_dword v49, off, s[24:27], 0 offset:24 ; 4-byte Folded Spill
	buffer_store_dword v50, off, s[24:27], 0 offset:28 ; 4-byte Folded Spill
	v_mul_f64 v[35:36], v[17:18], v[57:58]
	s_waitcnt vmcnt(24)
	v_mul_f64 v[39:40], v[23:24], v[118:119]
	v_mul_f64 v[92:93], v[31:32], v[102:103]
	v_fma_f64 v[10:11], v[11:12], v[47:48], -v[41:42]
	v_fma_f64 v[12:13], v[13:14], v[51:52], v[43:44]
	buffer_store_dword v51, off, s[24:27], 0 offset:32 ; 4-byte Folded Spill
	s_nop 0
	buffer_store_dword v52, off, s[24:27], 0 offset:36 ; 4-byte Folded Spill
	buffer_store_dword v53, off, s[24:27], 0 offset:40 ; 4-byte Folded Spill
	;; [unrolled: 1-line block ×3, first 2 shown]
	v_mul_f64 v[41:42], v[21:22], v[118:119]
	v_mul_f64 v[43:44], v[27:28], v[98:99]
	v_fma_f64 v[14:15], v[15:16], v[51:52], -v[45:46]
	v_fma_f64 v[16:17], v[17:18], v[55:56], v[33:34]
	buffer_store_dword v55, off, s[24:27], 0 offset:48 ; 4-byte Folded Spill
	s_nop 0
	buffer_store_dword v56, off, s[24:27], 0 offset:52 ; 4-byte Folded Spill
	buffer_store_dword v57, off, s[24:27], 0 offset:56 ; 4-byte Folded Spill
	;; [unrolled: 1-line block ×3, first 2 shown]
	v_mul_f64 v[45:46], v[25:26], v[98:99]
	v_fma_f64 v[18:19], v[19:20], v[55:56], -v[35:36]
	v_fma_f64 v[20:21], v[21:22], v[116:117], v[39:40]
	buffer_store_dword v116, off, s[24:27], 0 offset:152 ; 4-byte Folded Spill
	s_nop 0
	buffer_store_dword v117, off, s[24:27], 0 offset:156 ; 4-byte Folded Spill
	buffer_store_dword v118, off, s[24:27], 0 offset:160 ; 4-byte Folded Spill
	;; [unrolled: 1-line block ×3, first 2 shown]
	v_add_u32_e32 v36, v37, v202
	s_waitcnt vmcnt(20)
	v_mul_f64 v[34:35], v[88:89], v[138:139]
	v_fma_f64 v[22:23], v[23:24], v[116:117], -v[41:42]
	v_fma_f64 v[24:25], v[25:26], v[96:97], v[43:44]
	buffer_store_dword v96, off, s[24:27], 0 offset:64 ; 4-byte Folded Spill
	s_nop 0
	buffer_store_dword v97, off, s[24:27], 0 offset:68 ; 4-byte Folded Spill
	buffer_store_dword v98, off, s[24:27], 0 offset:72 ; 4-byte Folded Spill
	;; [unrolled: 1-line block ×3, first 2 shown]
	v_fma_f64 v[26:27], v[27:28], v[96:97], -v[45:46]
	v_fma_f64 v[28:29], v[29:30], v[100:101], v[92:93]
	buffer_store_dword v100, off, s[24:27], 0 offset:88 ; 4-byte Folded Spill
	s_nop 0
	buffer_store_dword v101, off, s[24:27], 0 offset:92 ; 4-byte Folded Spill
	buffer_store_dword v102, off, s[24:27], 0 offset:96 ; 4-byte Folded Spill
	buffer_store_dword v103, off, s[24:27], 0 offset:100 ; 4-byte Folded Spill
	v_fma_f64 v[30:31], v[31:32], v[100:101], -v[94:95]
	ds_write_b128 v36, v[4:7]
	ds_write_b128 v36, v[8:11] offset:2304
	ds_write_b128 v36, v[12:15] offset:4608
	;; [unrolled: 1-line block ×6, first 2 shown]
	v_mul_f64 v[4:5], v[62:63], v[106:107]
	v_mul_f64 v[8:9], v[66:67], v[110:111]
	;; [unrolled: 1-line block ×9, first 2 shown]
	v_fma_f64 v[4:5], v[60:61], v[104:105], v[4:5]
	buffer_store_dword v104, off, s[24:27], 0 offset:104 ; 4-byte Folded Spill
	s_nop 0
	buffer_store_dword v105, off, s[24:27], 0 offset:108 ; 4-byte Folded Spill
	buffer_store_dword v106, off, s[24:27], 0 offset:112 ; 4-byte Folded Spill
	buffer_store_dword v107, off, s[24:27], 0 offset:116 ; 4-byte Folded Spill
	v_mul_f64 v[10:11], v[64:65], v[110:111]
	v_fma_f64 v[8:9], v[64:65], v[108:109], v[8:9]
	buffer_store_dword v108, off, s[24:27], 0 offset:120 ; 4-byte Folded Spill
	s_nop 0
	buffer_store_dword v109, off, s[24:27], 0 offset:124 ; 4-byte Folded Spill
	buffer_store_dword v110, off, s[24:27], 0 offset:128 ; 4-byte Folded Spill
	buffer_store_dword v111, off, s[24:27], 0 offset:132 ; 4-byte Folded Spill
	v_mul_f64 v[14:15], v[68:69], v[122:123]
	;; [unrolled: 7-line block ×6, first 2 shown]
	v_fma_f64 v[28:29], v[84:85], v[132:133], v[28:29]
	buffer_store_dword v132, off, s[24:27], 0 offset:216 ; 4-byte Folded Spill
	s_nop 0
	buffer_store_dword v133, off, s[24:27], 0 offset:220 ; 4-byte Folded Spill
	buffer_store_dword v134, off, s[24:27], 0 offset:224 ; 4-byte Folded Spill
	;; [unrolled: 1-line block ×3, first 2 shown]
	v_fma_f64 v[32:33], v[88:89], v[136:137], v[32:33]
	buffer_store_dword v136, off, s[24:27], 0 offset:232 ; 4-byte Folded Spill
	s_nop 0
	buffer_store_dword v137, off, s[24:27], 0 offset:236 ; 4-byte Folded Spill
	buffer_store_dword v138, off, s[24:27], 0 offset:240 ; 4-byte Folded Spill
	buffer_store_dword v139, off, s[24:27], 0 offset:244 ; 4-byte Folded Spill
	v_fma_f64 v[6:7], v[62:63], v[104:105], -v[6:7]
	v_fma_f64 v[10:11], v[66:67], v[108:109], -v[10:11]
	;; [unrolled: 1-line block ×8, first 2 shown]
	ds_write_b128 v36, v[4:7] offset:3168
	ds_write_b128 v36, v[8:11] offset:5472
	;; [unrolled: 1-line block ×8, first 2 shown]
	buffer_store_dword v38, off, s[24:27], 0 ; 4-byte Folded Spill
	s_and_saveexec_b64 s[2:3], vcc
	s_cbranch_execz .LBB0_3
; %bb.2:
	v_mov_b32_e32 v4, s1
	v_add_co_u32_e64 v6, s[0:1], s0, v2
	v_addc_co_u32_e64 v7, s[0:1], v3, v4, s[0:1]
	v_mov_b32_e32 v20, s15
	v_add_co_u32_e64 v18, s[0:1], s14, v6
	v_addc_co_u32_e64 v19, s[0:1], v7, v20, s[0:1]
	global_load_dwordx4 v[2:5], v[6:7], off
	v_add_co_u32_e64 v26, s[0:1], s14, v18
	global_load_dwordx4 v[6:9], v[18:19], off
	buffer_load_dword v10, off, s[24:27], 0 offset:4 ; 4-byte Folded Reload
	buffer_load_dword v11, off, s[24:27], 0 offset:8 ; 4-byte Folded Reload
	v_addc_co_u32_e64 v27, s[0:1], v19, v20, s[0:1]
	s_waitcnt vmcnt(0)
	global_load_dwordx4 v[10:13], v[10:11], off offset:2160
	s_nop 0
	global_load_dwordx4 v[14:17], v[0:1], off offset:368
	global_load_dwordx4 v[18:21], v[0:1], off offset:2672
	global_load_dwordx4 v[22:25], v[26:27], off
	s_waitcnt vmcnt(3)
	v_mul_f64 v[0:1], v[4:5], v[12:13]
	v_mul_f64 v[12:13], v[2:3], v[12:13]
	s_waitcnt vmcnt(2)
	v_mul_f64 v[26:27], v[8:9], v[16:17]
	v_mul_f64 v[16:17], v[6:7], v[16:17]
	;; [unrolled: 3-line block ×3, first 2 shown]
	v_fma_f64 v[0:1], v[2:3], v[10:11], v[0:1]
	v_fma_f64 v[2:3], v[4:5], v[10:11], -v[12:13]
	v_fma_f64 v[4:5], v[6:7], v[14:15], v[26:27]
	v_fma_f64 v[6:7], v[8:9], v[14:15], -v[16:17]
	v_fma_f64 v[8:9], v[22:23], v[18:19], v[28:29]
	v_fma_f64 v[10:11], v[24:25], v[18:19], -v[20:21]
	ds_write_b128 v36, v[0:3] offset:2160
	ds_write_b128 v36, v[4:7] offset:4464
	;; [unrolled: 1-line block ×3, first 2 shown]
.LBB0_3:
	s_or_b64 exec, exec, s[2:3]
	s_waitcnt lgkmcnt(0)
	; wave barrier
	s_waitcnt lgkmcnt(0)
	ds_read_b128 v[100:103], v36
	ds_read_b128 v[16:19], v36 offset:432
	ds_read_b128 v[96:99], v36 offset:4608
	;; [unrolled: 1-line block ×14, first 2 shown]
	s_load_dwordx2 s[2:3], s[4:5], 0x8
                                        ; implicit-def: $vgpr60_vgpr61
                                        ; implicit-def: $vgpr64_vgpr65
                                        ; implicit-def: $vgpr68_vgpr69
	s_and_saveexec_b64 s[0:1], vcc
	s_cbranch_execz .LBB0_5
; %bb.4:
	ds_read_b128 v[60:63], v36 offset:2160
	ds_read_b128 v[64:67], v36 offset:4464
	;; [unrolled: 1-line block ×3, first 2 shown]
.LBB0_5:
	s_or_b64 exec, exec, s[0:1]
	buffer_load_dword v35, off, s[24:27], 0 ; 4-byte Folded Reload
	s_waitcnt lgkmcnt(0)
	v_add_f64 v[29:30], v[24:25], v[96:97]
	v_add_f64 v[39:40], v[26:27], -v[98:99]
	s_mov_b32 s5, 0xbfebb67a
	v_add_f64 v[31:32], v[100:101], v[24:25]
	v_add_f64 v[41:42], v[26:27], v[98:99]
	;; [unrolled: 1-line block ×3, first 2 shown]
	v_add_f64 v[45:46], v[24:25], -v[96:97]
	v_add_f64 v[26:27], v[102:103], v[26:27]
	v_fma_f64 v[33:34], v[29:30], -0.5, v[100:101]
	v_add_f64 v[104:105], v[64:65], -v[68:69]
	v_add_f64 v[29:30], v[31:32], v[96:97]
	v_fma_f64 v[41:42], v[41:42], -0.5, v[102:103]
	v_fma_f64 v[43:44], v[43:44], -0.5, v[16:17]
	v_add_f64 v[96:97], v[22:23], -v[14:15]
	v_add_f64 v[31:32], v[26:27], v[98:99]
	v_add_f64 v[98:99], v[84:85], -v[0:1]
	; wave barrier
	s_waitcnt vmcnt(0)
	v_add_co_u32_e64 v206, s[0:1], 27, v35
	v_addc_co_u32_e64 v28, s[0:1], 0, 0, s[0:1]
	v_add_co_u32_e64 v205, s[0:1], 54, v35
	s_movk_i32 s0, 0x51
	v_add_co_u32_e64 v204, s[0:1], s0, v35
	s_movk_i32 s0, 0x6c
	;; [unrolled: 2-line block ×3, first 2 shown]
	v_add_co_u32_e64 v249, s[0:1], s0, v35
	v_addc_co_u32_e64 v250, s[0:1], 0, 0, s[0:1]
	s_mov_b32 s0, 0xe8584caa
	s_mov_b32 s1, 0x3febb67a
	;; [unrolled: 1-line block ×3, first 2 shown]
	v_fma_f64 v[100:101], v[39:40], s[0:1], v[33:34]
	v_fma_f64 v[24:25], v[39:40], s[4:5], v[33:34]
	v_add_f64 v[33:34], v[16:17], v[20:21]
	v_add_f64 v[39:40], v[22:23], v[14:15]
	v_fma_f64 v[102:103], v[45:46], s[4:5], v[41:42]
	v_fma_f64 v[26:27], v[45:46], s[0:1], v[41:42]
	v_add_f64 v[22:23], v[18:19], v[22:23]
	v_add_f64 v[41:42], v[20:21], -v[12:13]
	v_add_f64 v[45:46], v[92:93], v[88:89]
	v_fma_f64 v[20:21], v[96:97], s[4:5], v[43:44]
	v_add_f64 v[16:17], v[33:34], v[12:13]
	v_add_f64 v[33:34], v[88:89], v[8:9]
	v_fma_f64 v[39:40], v[39:40], -0.5, v[18:19]
	v_fma_f64 v[12:13], v[96:97], s[0:1], v[43:44]
	v_add_f64 v[96:97], v[90:91], -v[10:11]
	v_add_f64 v[18:19], v[22:23], v[14:15]
	v_add_f64 v[43:44], v[90:91], v[10:11]
	v_fma_f64 v[33:34], v[33:34], -0.5, v[92:93]
	v_fma_f64 v[14:15], v[41:42], s[4:5], v[39:40]
	v_fma_f64 v[22:23], v[41:42], s[0:1], v[39:40]
	v_add_f64 v[92:93], v[45:46], v[8:9]
	v_add_f64 v[39:40], v[84:85], v[0:1]
	v_add_f64 v[45:46], v[88:89], -v[8:9]
	v_add_f64 v[41:42], v[94:95], v[90:91]
	v_fma_f64 v[43:44], v[43:44], -0.5, v[94:95]
	v_fma_f64 v[8:9], v[96:97], s[0:1], v[33:34]
	v_fma_f64 v[88:89], v[96:97], s[4:5], v[33:34]
	v_add_f64 v[33:34], v[4:5], v[84:85]
	v_add_f64 v[96:97], v[86:87], -v[2:3]
	v_fma_f64 v[39:40], v[39:40], -0.5, v[4:5]
	v_add_f64 v[90:91], v[86:87], v[2:3]
	v_add_f64 v[94:95], v[41:42], v[10:11]
	;; [unrolled: 1-line block ×3, first 2 shown]
	v_fma_f64 v[10:11], v[45:46], s[4:5], v[43:44]
	v_add_f64 v[0:1], v[33:34], v[0:1]
	v_add_f64 v[33:34], v[76:77], v[80:81]
	v_fma_f64 v[4:5], v[96:97], s[0:1], v[39:40]
	v_fma_f64 v[84:85], v[96:97], s[4:5], v[39:40]
	v_add_f64 v[39:40], v[80:81], v[72:73]
	v_add_f64 v[2:3], v[41:42], v[2:3]
	;; [unrolled: 1-line block ×3, first 2 shown]
	v_fma_f64 v[86:87], v[90:91], -0.5, v[6:7]
	v_fma_f64 v[90:91], v[45:46], s[0:1], v[43:44]
	v_add_f64 v[96:97], v[33:34], v[72:73]
	v_add_f64 v[33:34], v[66:67], v[70:71]
	;; [unrolled: 1-line block ×3, first 2 shown]
	v_fma_f64 v[39:40], v[39:40], -0.5, v[76:77]
	v_add_f64 v[45:46], v[82:83], -v[74:75]
	v_add_f64 v[82:83], v[78:79], v[82:83]
	v_fma_f64 v[41:42], v[41:42], -0.5, v[78:79]
	v_add_f64 v[78:79], v[80:81], -v[72:73]
	v_add_f64 v[80:81], v[66:67], -v[70:71]
	v_fma_f64 v[33:34], v[33:34], -0.5, v[62:63]
	v_fma_f64 v[43:44], v[43:44], -0.5, v[60:61]
	v_fma_f64 v[6:7], v[98:99], s[4:5], v[86:87]
	v_fma_f64 v[86:87], v[98:99], s[0:1], v[86:87]
	;; [unrolled: 1-line block ×3, first 2 shown]
	v_add_f64 v[98:99], v[82:83], v[74:75]
	v_fma_f64 v[74:75], v[78:79], s[4:5], v[41:42]
	v_fma_f64 v[78:79], v[78:79], s[0:1], v[41:42]
	;; [unrolled: 1-line block ×4, first 2 shown]
	v_mul_lo_u16_e32 v33, 3, v35
	v_lshl_add_u32 v33, v33, 4, v37
	ds_write_b128 v33, v[29:32]
	ds_write_b128 v33, v[100:103] offset:16
	ds_write_b128 v33, v[24:27] offset:32
	v_mul_u32_u24_e32 v24, 3, v206
	v_fma_f64 v[72:73], v[45:46], s[0:1], v[39:40]
	v_fma_f64 v[168:169], v[80:81], s[0:1], v[43:44]
	;; [unrolled: 1-line block ×3, first 2 shown]
	v_lshl_add_u32 v24, v24, 4, v37
	buffer_store_dword v33, off, s[24:27], 0 offset:268 ; 4-byte Folded Spill
	ds_write_b128 v24, v[16:19]
	ds_write_b128 v24, v[12:15] offset:16
	v_mul_u32_u24_e32 v12, 3, v205
	v_lshl_add_u32 v12, v12, 4, v37
	buffer_store_dword v24, off, s[24:27], 0 offset:272 ; 4-byte Folded Spill
	ds_write_b128 v24, v[20:23] offset:32
	ds_write_b128 v12, v[92:95]
	ds_write_b128 v12, v[8:11] offset:16
	v_mul_u32_u24_e32 v8, 3, v204
	v_lshl_add_u32 v8, v8, 4, v37
	buffer_store_dword v12, off, s[24:27], 0 offset:276 ; 4-byte Folded Spill
	ds_write_b128 v12, v[88:91] offset:32
	;; [unrolled: 6-line block ×3, first 2 shown]
	ds_write_b128 v0, v[96:99]
	ds_write_b128 v0, v[72:75] offset:16
	buffer_store_dword v0, off, s[24:27], 0 offset:284 ; 4-byte Folded Spill
	ds_write_b128 v0, v[76:79] offset:32
	v_mul_u32_u24_e32 v0, 3, v249
	buffer_store_dword v0, off, s[24:27], 0 offset:308 ; 4-byte Folded Spill
	s_and_saveexec_b64 s[0:1], vcc
	s_cbranch_execz .LBB0_7
; %bb.6:
	v_add_f64 v[0:1], v[62:63], v[66:67]
	v_add_f64 v[4:5], v[60:61], v[64:65]
	;; [unrolled: 1-line block ×4, first 2 shown]
	v_mul_u32_u24_e32 v4, 3, v249
	v_lshl_add_u32 v4, v4, 4, v37
	ds_write_b128 v4, v[168:171] offset:16
	ds_write_b128 v4, v[0:3]
	ds_write_b128 v4, v[172:175] offset:32
.LBB0_7:
	s_or_b64 exec, exec, s[0:1]
	s_waitcnt lgkmcnt(0)
	; wave barrier
	s_waitcnt lgkmcnt(0)
	ds_read_b128 v[120:123], v36
	ds_read_b128 v[2:5], v36 offset:432
	ds_read_b128 v[6:9], v36 offset:864
	ds_read_b128 v[10:13], v36 offset:1296
	ds_read_b128 v[14:17], v36 offset:1728
	ds_read_b128 v[18:21], v36 offset:2160
	ds_read_b128 v[22:25], v36 offset:2592
	ds_read_b128 v[29:32], v36 offset:3024
	ds_read_b128 v[84:87], v36 offset:3456
	ds_read_b128 v[100:103], v36 offset:3888
	ds_read_b128 v[108:111], v36 offset:4320
	ds_read_b128 v[116:119], v36 offset:4752
	ds_read_b128 v[136:139], v36 offset:5184
	ds_read_b128 v[132:135], v36 offset:5616
	ds_read_b128 v[128:131], v36 offset:6048
	ds_read_b128 v[124:127], v36 offset:6480
	buffer_load_dword v26, off, s[24:27], 0 ; 4-byte Folded Reload
	s_movk_i32 s20, 0xab
	s_movk_i32 s0, 0xf0
	s_mov_b32 s5, 0x3fe6a09e
	s_mov_b32 s18, 0xcf328d46
	;; [unrolled: 1-line block ×9, first 2 shown]
	s_waitcnt vmcnt(0)
	v_mul_lo_u16_sdwa v0, v26, s20 dst_sel:DWORD dst_unused:UNUSED_PAD src0_sel:BYTE_0 src1_sel:DWORD
	v_lshrrev_b16_e32 v0, 9, v0
	v_mul_lo_u16_e32 v1, 3, v0
	v_sub_u16_e32 v1, v26, v1
	v_mov_b32_e32 v27, s3
	v_and_b32_e32 v1, 0xff, v1
	v_mov_b32_e32 v26, s2
	v_mad_u64_u32 v[26:27], s[0:1], v1, s0, v[26:27]
	global_load_dwordx4 v[60:63], v[26:27], off offset:48
	global_load_dwordx4 v[68:71], v[26:27], off offset:32
	;; [unrolled: 1-line block ×3, first 2 shown]
	global_load_dwordx4 v[92:95], v[26:27], off
	global_load_dwordx4 v[64:67], v[26:27], off offset:112
	global_load_dwordx4 v[72:75], v[26:27], off offset:96
	;; [unrolled: 1-line block ×4, first 2 shown]
	s_mov_b32 s0, 0x667f3bcd
	s_mov_b32 s1, 0xbfe6a09e
	;; [unrolled: 1-line block ×3, first 2 shown]
	v_mul_u32_u24_e32 v0, 48, v0
	v_or_b32_e32 v0, v0, v1
	s_waitcnt vmcnt(3) lgkmcnt(7)
	v_mul_f64 v[39:40], v[84:85], v[66:67]
	v_mul_f64 v[33:34], v[4:5], v[94:95]
	v_fma_f64 v[39:40], v[86:87], v[64:65], v[39:40]
	v_fma_f64 v[33:34], v[2:3], v[92:93], -v[33:34]
	v_mul_f64 v[2:3], v[2:3], v[94:95]
	v_add_f64 v[39:40], v[122:123], -v[39:40]
	v_fma_f64 v[2:3], v[4:5], v[92:93], v[2:3]
	v_mul_f64 v[4:5], v[8:9], v[78:79]
	v_fma_f64 v[122:123], v[122:123], 2.0, -v[39:40]
	v_fma_f64 v[4:5], v[6:7], v[76:77], -v[4:5]
	v_mul_f64 v[6:7], v[6:7], v[78:79]
	v_fma_f64 v[6:7], v[8:9], v[76:77], v[6:7]
	v_mul_f64 v[8:9], v[12:13], v[70:71]
	v_fma_f64 v[8:9], v[10:11], v[68:69], -v[8:9]
	v_mul_f64 v[10:11], v[10:11], v[70:71]
	v_fma_f64 v[10:11], v[12:13], v[68:69], v[10:11]
	v_mul_f64 v[12:13], v[16:17], v[62:63]
	v_fma_f64 v[12:13], v[14:15], v[60:61], -v[12:13]
	v_mul_f64 v[14:15], v[14:15], v[62:63]
	v_fma_f64 v[14:15], v[16:17], v[60:61], v[14:15]
	s_waitcnt vmcnt(0)
	v_mul_f64 v[16:17], v[20:21], v[106:107]
	v_fma_f64 v[16:17], v[18:19], v[104:105], -v[16:17]
	v_mul_f64 v[18:19], v[18:19], v[106:107]
	v_fma_f64 v[18:19], v[20:21], v[104:105], v[18:19]
	v_mul_f64 v[20:21], v[24:25], v[82:83]
	v_fma_f64 v[20:21], v[22:23], v[80:81], -v[20:21]
	v_mul_f64 v[22:23], v[22:23], v[82:83]
	v_fma_f64 v[22:23], v[24:25], v[80:81], v[22:23]
	;; [unrolled: 4-line block ×3, first 2 shown]
	v_mul_f64 v[31:32], v[86:87], v[66:67]
	v_fma_f64 v[31:32], v[84:85], v[64:65], -v[31:32]
	global_load_dwordx4 v[84:87], v[26:27], off offset:176
	global_load_dwordx4 v[88:91], v[26:27], off offset:160
	;; [unrolled: 1-line block ×4, first 2 shown]
	v_add_f64 v[31:32], v[120:121], -v[31:32]
	v_fma_f64 v[120:121], v[120:121], 2.0, -v[31:32]
	s_waitcnt vmcnt(1) lgkmcnt(5)
	v_mul_f64 v[45:46], v[110:111], v[98:99]
	s_waitcnt vmcnt(0)
	v_mul_f64 v[41:42], v[102:103], v[114:115]
	v_mul_f64 v[43:44], v[100:101], v[114:115]
	v_fma_f64 v[45:46], v[108:109], v[96:97], -v[45:46]
	v_fma_f64 v[41:42], v[100:101], v[112:113], -v[41:42]
	v_mul_f64 v[100:101], v[108:109], v[98:99]
	v_fma_f64 v[43:44], v[102:103], v[112:113], v[43:44]
	v_add_f64 v[45:46], v[4:5], -v[45:46]
	v_add_f64 v[41:42], v[33:34], -v[41:42]
	v_fma_f64 v[140:141], v[110:111], v[96:97], v[100:101]
	s_waitcnt lgkmcnt(4)
	v_mul_f64 v[100:101], v[118:119], v[90:91]
	v_add_f64 v[43:44], v[2:3], -v[43:44]
	v_fma_f64 v[4:5], v[4:5], 2.0, -v[45:46]
	v_fma_f64 v[33:34], v[33:34], 2.0, -v[41:42]
	v_fma_f64 v[142:143], v[116:117], v[88:89], -v[100:101]
	v_mul_f64 v[100:101], v[116:117], v[90:91]
	v_fma_f64 v[2:3], v[2:3], 2.0, -v[43:44]
	v_fma_f64 v[144:145], v[118:119], v[88:89], v[100:101]
	s_waitcnt lgkmcnt(3)
	v_mul_f64 v[100:101], v[138:139], v[86:87]
	v_fma_f64 v[146:147], v[136:137], v[84:85], -v[100:101]
	v_mul_f64 v[100:101], v[136:137], v[86:87]
	v_fma_f64 v[136:137], v[138:139], v[84:85], v[100:101]
	global_load_dwordx4 v[100:103], v[26:27], off offset:224
	global_load_dwordx4 v[108:111], v[26:27], off offset:208
	global_load_dwordx4 v[116:119], v[26:27], off offset:192
	v_add_f64 v[138:139], v[6:7], -v[140:141]
	v_add_f64 v[140:141], v[8:9], -v[142:143]
	;; [unrolled: 1-line block ×3, first 2 shown]
	s_waitcnt lgkmcnt(0)
	; wave barrier
	s_waitcnt lgkmcnt(0)
	buffer_store_dword v37, off, s[24:27], 0 offset:264 ; 4-byte Folded Spill
	v_add_f64 v[136:137], v[14:15], -v[136:137]
	v_fma_f64 v[6:7], v[6:7], 2.0, -v[138:139]
	v_fma_f64 v[8:9], v[8:9], 2.0, -v[140:141]
	;; [unrolled: 1-line block ×4, first 2 shown]
	v_add_f64 v[136:137], v[31:32], -v[136:137]
	v_add_f64 v[14:15], v[122:123], -v[14:15]
	v_fma_f64 v[31:32], v[31:32], 2.0, -v[136:137]
	v_fma_f64 v[122:123], v[122:123], 2.0, -v[14:15]
	s_waitcnt vmcnt(1)
	v_mul_f64 v[26:27], v[134:135], v[118:119]
	v_fma_f64 v[26:27], v[132:133], v[116:117], -v[26:27]
	v_mul_f64 v[132:133], v[132:133], v[118:119]
	v_add_f64 v[26:27], v[16:17], -v[26:27]
	v_fma_f64 v[132:133], v[134:135], v[116:117], v[132:133]
	v_mul_f64 v[134:135], v[130:131], v[110:111]
	v_fma_f64 v[16:17], v[16:17], 2.0, -v[26:27]
	v_add_f64 v[132:133], v[18:19], -v[132:133]
	v_fma_f64 v[134:135], v[128:129], v[108:109], -v[134:135]
	v_mul_f64 v[128:129], v[128:129], v[110:111]
	v_add_f64 v[26:27], v[43:44], v[26:27]
	v_add_f64 v[16:17], v[33:34], -v[16:17]
	v_fma_f64 v[18:19], v[18:19], 2.0, -v[132:133]
	v_add_f64 v[134:135], v[20:21], -v[134:135]
	v_fma_f64 v[128:129], v[130:131], v[108:109], v[128:129]
	v_mul_f64 v[130:131], v[126:127], v[102:103]
	v_add_f64 v[132:133], v[41:42], -v[132:133]
	v_fma_f64 v[43:44], v[43:44], 2.0, -v[26:27]
	v_fma_f64 v[33:34], v[33:34], 2.0, -v[16:17]
	v_add_f64 v[18:19], v[2:3], -v[18:19]
	v_fma_f64 v[20:21], v[20:21], 2.0, -v[134:135]
	v_add_f64 v[128:129], v[22:23], -v[128:129]
	v_fma_f64 v[130:131], v[124:125], v[100:101], -v[130:131]
	v_mul_f64 v[124:125], v[124:125], v[102:103]
	v_add_f64 v[134:135], v[138:139], v[134:135]
	v_fma_f64 v[41:42], v[41:42], 2.0, -v[132:133]
	v_fma_f64 v[2:3], v[2:3], 2.0, -v[18:19]
	v_add_f64 v[20:21], v[4:5], -v[20:21]
	v_fma_f64 v[22:23], v[22:23], 2.0, -v[128:129]
	v_add_f64 v[128:129], v[45:46], -v[128:129]
	v_fma_f64 v[124:125], v[126:127], v[100:101], v[124:125]
	v_add_f64 v[126:127], v[12:13], -v[146:147]
	v_add_f64 v[130:131], v[24:25], -v[130:131]
	v_fma_f64 v[138:139], v[138:139], 2.0, -v[134:135]
	v_fma_f64 v[4:5], v[4:5], 2.0, -v[20:21]
	v_add_f64 v[22:23], v[6:7], -v[22:23]
	v_fma_f64 v[45:46], v[45:46], 2.0, -v[128:129]
	v_add_f64 v[124:125], v[29:30], -v[124:125]
	v_fma_f64 v[12:13], v[12:13], 2.0, -v[126:127]
	v_add_f64 v[126:127], v[39:40], v[126:127]
	v_fma_f64 v[24:25], v[24:25], 2.0, -v[130:131]
	v_add_f64 v[130:131], v[142:143], v[130:131]
	v_add_f64 v[150:151], v[14:15], v[20:21]
	v_fma_f64 v[6:7], v[6:7], 2.0, -v[22:23]
	v_fma_f64 v[29:30], v[29:30], 2.0, -v[124:125]
	v_add_f64 v[12:13], v[120:121], -v[12:13]
	v_fma_f64 v[39:40], v[39:40], 2.0, -v[126:127]
	v_add_f64 v[24:25], v[8:9], -v[24:25]
	v_add_f64 v[124:125], v[140:141], -v[124:125]
	v_fma_f64 v[142:143], v[142:143], 2.0, -v[130:131]
	v_add_f64 v[146:147], v[122:123], -v[6:7]
	;; [unrolled: 3-line block ×3, first 2 shown]
	v_fma_f64 v[8:9], v[8:9], 2.0, -v[24:25]
	v_fma_f64 v[140:141], v[140:141], 2.0, -v[124:125]
	;; [unrolled: 1-line block ×3, first 2 shown]
	v_add_f64 v[144:145], v[120:121], -v[4:5]
	v_fma_f64 v[4:5], v[45:46], s[0:1], v[31:32]
	v_fma_f64 v[22:23], v[12:13], 2.0, -v[148:149]
	v_fma_f64 v[12:13], v[134:135], s[4:5], v[126:127]
	v_fma_f64 v[6:7], v[120:121], 2.0, -v[144:145]
	v_fma_f64 v[120:121], v[122:123], 2.0, -v[146:147]
	v_fma_f64 v[122:123], v[138:139], s[0:1], v[39:40]
	v_fma_f64 v[138:139], v[138:139], s[0:1], v[4:5]
	;; [unrolled: 1-line block ×5, first 2 shown]
	v_fma_f64 v[31:32], v[31:32], 2.0, -v[138:139]
	v_fma_f64 v[152:153], v[134:135], s[0:1], v[4:5]
	v_add_f64 v[134:135], v[33:34], -v[8:9]
	v_fma_f64 v[122:123], v[14:15], 2.0, -v[150:151]
	v_fma_f64 v[14:15], v[130:131], s[4:5], v[26:27]
	v_fma_f64 v[126:127], v[126:127], 2.0, -v[154:155]
	v_fma_f64 v[39:40], v[39:40], 2.0, -v[45:46]
	;; [unrolled: 1-line block ×3, first 2 shown]
	v_add_f64 v[136:137], v[2:3], -v[10:11]
	v_fma_f64 v[10:11], v[142:143], s[0:1], v[43:44]
	v_fma_f64 v[4:5], v[33:34], 2.0, -v[134:135]
	v_fma_f64 v[158:159], v[124:125], s[4:5], v[14:15]
	v_fma_f64 v[8:9], v[2:3], 2.0, -v[136:137]
	v_fma_f64 v[2:3], v[140:141], s[0:1], v[41:42]
	v_fma_f64 v[140:141], v[140:141], s[4:5], v[10:11]
	v_fma_f64 v[26:27], v[26:27], 2.0, -v[158:159]
	v_fma_f64 v[33:34], v[142:143], s[0:1], v[2:3]
	v_fma_f64 v[10:11], v[43:44], 2.0, -v[140:141]
	v_add_f64 v[43:44], v[18:19], v[24:25]
	v_fma_f64 v[2:3], v[124:125], s[4:5], v[132:133]
	v_fma_f64 v[12:13], v[41:42], 2.0, -v[33:34]
	v_add_f64 v[41:42], v[16:17], -v[29:30]
	v_fma_f64 v[18:19], v[18:19], 2.0, -v[43:44]
	v_fma_f64 v[156:157], v[130:131], s[0:1], v[2:3]
	v_add_f64 v[2:3], v[6:7], -v[4:5]
	v_add_f64 v[4:5], v[120:121], -v[8:9]
	v_fma_f64 v[14:15], v[12:13], s[18:19], v[31:32]
	v_fma_f64 v[20:21], v[16:17], 2.0, -v[41:42]
	v_fma_f64 v[16:17], v[10:11], s[18:19], v[39:40]
	v_fma_f64 v[124:125], v[132:133], 2.0, -v[156:157]
	v_fma_f64 v[29:30], v[18:19], s[0:1], v[122:123]
	v_fma_f64 v[6:7], v[6:7], 2.0, -v[2:3]
	v_fma_f64 v[8:9], v[120:121], 2.0, -v[4:5]
	v_fma_f64 v[10:11], v[10:11], s[16:17], v[14:15]
	v_fma_f64 v[24:25], v[20:21], s[0:1], v[22:23]
	;; [unrolled: 1-line block ×5, first 2 shown]
	v_fma_f64 v[14:15], v[31:32], 2.0, -v[10:11]
	v_fma_f64 v[31:32], v[26:27], s[16:17], v[126:127]
	v_fma_f64 v[16:17], v[39:40], 2.0, -v[12:13]
	v_fma_f64 v[39:40], v[140:141], s[14:15], v[45:46]
	v_fma_f64 v[18:19], v[18:19], s[0:1], v[24:25]
	;; [unrolled: 1-line block ×4, first 2 shown]
	v_fma_f64 v[24:25], v[122:123], 2.0, -v[20:21]
	v_fma_f64 v[31:32], v[124:125], s[22:23], v[31:32]
	v_add_f64 v[124:125], v[144:145], -v[136:137]
	v_fma_f64 v[22:23], v[22:23], 2.0, -v[18:19]
	v_fma_f64 v[120:121], v[128:129], 2.0, -v[29:30]
	v_fma_f64 v[132:133], v[140:141], s[18:19], v[26:27]
	v_fma_f64 v[26:27], v[41:42], s[4:5], v[148:149]
	v_fma_f64 v[122:123], v[126:127], 2.0, -v[31:32]
	v_add_f64 v[126:127], v[146:147], v[134:135]
	v_fma_f64 v[134:135], v[33:34], s[22:23], v[39:40]
	v_fma_f64 v[33:34], v[43:44], s[4:5], v[150:151]
	v_fma_f64 v[128:129], v[144:145], 2.0, -v[124:125]
	v_fma_f64 v[136:137], v[138:139], 2.0, -v[132:133]
	v_fma_f64 v[140:141], v[43:44], s[0:1], v[26:27]
	v_fma_f64 v[26:27], v[156:157], s[22:23], v[152:153]
	v_lshl_add_u32 v39, v0, 4, v37
	v_fma_f64 v[130:131], v[146:147], 2.0, -v[126:127]
	v_fma_f64 v[138:139], v[45:46], 2.0, -v[134:135]
	v_fma_f64 v[142:143], v[41:42], s[4:5], v[33:34]
	v_fma_f64 v[33:34], v[158:159], s[22:23], v[154:155]
	v_fma_f64 v[144:145], v[148:149], 2.0, -v[140:141]
	v_fma_f64 v[176:177], v[158:159], s[16:17], v[26:27]
	v_fma_f64 v[146:147], v[150:151], 2.0, -v[142:143]
	;; [unrolled: 2-line block ×3, first 2 shown]
	v_fma_f64 v[150:151], v[154:155], 2.0, -v[178:179]
	ds_write_b128 v39, v[6:9]
	ds_write_b128 v39, v[14:17] offset:48
	ds_write_b128 v39, v[22:25] offset:96
	;; [unrolled: 1-line block ×15, first 2 shown]
	s_waitcnt lgkmcnt(0)
	; wave barrier
	s_waitcnt lgkmcnt(0)
	ds_read_b128 v[196:199], v36
	ds_read_b128 v[24:27], v36 offset:2304
	ds_read_b128 v[20:23], v36 offset:4608
	;; [unrolled: 1-line block ×14, first 2 shown]
	s_and_saveexec_b64 s[0:1], vcc
	s_cbranch_execz .LBB0_9
; %bb.8:
	ds_read_b128 v[176:179], v36 offset:2160
	ds_read_b128 v[168:171], v36 offset:4464
	;; [unrolled: 1-line block ×3, first 2 shown]
.LBB0_9:
	s_or_b64 exec, exec, s[0:1]
	buffer_load_dword v37, off, s[24:27], 0 ; 4-byte Folded Reload
	v_mov_b32_e32 v35, s3
	s_mov_b32 s5, 0xbfebb67a
	s_waitcnt vmcnt(0)
	v_lshlrev_b32_e32 v29, 5, v37
	global_load_dwordx4 v[120:123], v29, s[2:3] offset:736
	global_load_dwordx4 v[124:127], v29, s[2:3] offset:720
	v_add_co_u32_e64 v200, s[0:1], s2, v29
	v_addc_co_u32_e64 v201, s[0:1], 0, v35, s[0:1]
	s_movk_i32 s0, 0xffeb
	s_waitcnt vmcnt(0) lgkmcnt(13)
	v_mul_f64 v[29:30], v[26:27], v[126:127]
	v_fma_f64 v[31:32], v[24:25], v[124:125], -v[29:30]
	v_mul_f64 v[24:25], v[24:25], v[126:127]
	v_add_f64 v[29:30], v[196:197], v[31:32]
	v_fma_f64 v[33:34], v[26:27], v[124:125], v[24:25]
	s_waitcnt lgkmcnt(12)
	v_mul_f64 v[24:25], v[22:23], v[122:123]
	v_fma_f64 v[40:41], v[20:21], v[120:121], -v[24:25]
	v_mul_f64 v[20:21], v[20:21], v[122:123]
	v_add_u32_e32 v25, 6, v37
	v_fma_f64 v[42:43], v[22:23], v[120:121], v[20:21]
	v_add_co_u32_e64 v20, s[0:1], s0, v37
	v_addc_co_u32_e64 v21, s[0:1], 0, -1, s[0:1]
	v_cmp_gt_u16_e64 s[0:1], 21, v37
	v_cndmask_b32_e64 v21, v21, v28, s[0:1]
	v_cndmask_b32_e64 v20, v20, v206, s[0:1]
	v_lshlrev_b64 v[21:22], 5, v[20:21]
	v_add_co_u32_e64 v21, s[0:1], s2, v21
	v_addc_co_u32_e64 v22, s[0:1], v35, v22, s[0:1]
	global_load_dwordx4 v[128:131], v[21:22], off offset:736
	global_load_dwordx4 v[132:135], v[21:22], off offset:720
	s_mov_b32 s0, 0xe8584caa
	s_mov_b32 s1, 0x3febb67a
	;; [unrolled: 1-line block ×3, first 2 shown]
	s_waitcnt vmcnt(0) lgkmcnt(10)
	v_mul_f64 v[21:22], v[18:19], v[134:135]
	v_fma_f64 v[44:45], v[16:17], v[132:133], -v[21:22]
	v_mul_f64 v[16:17], v[16:17], v[134:135]
	v_fma_f64 v[46:47], v[18:19], v[132:133], v[16:17]
	s_waitcnt lgkmcnt(9)
	v_mul_f64 v[16:17], v[14:15], v[130:131]
	v_fma_f64 v[211:212], v[12:13], v[128:129], -v[16:17]
	v_mul_f64 v[12:13], v[12:13], v[130:131]
	v_fma_f64 v[213:214], v[14:15], v[128:129], v[12:13]
	v_lshlrev_b32_e32 v12, 5, v25
	global_load_dwordx4 v[136:139], v12, s[2:3] offset:736
	global_load_dwordx4 v[140:143], v12, s[2:3] offset:720
	v_mov_b32_e32 v14, 5
	s_waitcnt vmcnt(0) lgkmcnt(7)
	v_mul_f64 v[12:13], v[150:151], v[142:143]
	v_fma_f64 v[217:218], v[148:149], v[140:141], -v[12:13]
	v_mul_f64 v[12:13], v[148:149], v[142:143]
	v_fma_f64 v[219:220], v[150:151], v[140:141], v[12:13]
	s_waitcnt lgkmcnt(6)
	v_mul_f64 v[12:13], v[146:147], v[138:139]
	v_fma_f64 v[221:222], v[144:145], v[136:137], -v[12:13]
	v_mul_f64 v[12:13], v[144:145], v[138:139]
	v_fma_f64 v[226:227], v[146:147], v[136:137], v[12:13]
	v_mul_lo_u16_sdwa v12, v204, s20 dst_sel:DWORD dst_unused:UNUSED_PAD src0_sel:BYTE_0 src1_sel:DWORD
	v_lshrrev_b16_e32 v26, 13, v12
	v_mul_lo_u16_e32 v12, 48, v26
	v_sub_u16_e32 v27, v204, v12
	v_lshlrev_b32_sdwa v12, v14, v27 dst_sel:DWORD dst_unused:UNUSED_PAD src0_sel:DWORD src1_sel:BYTE_0
	global_load_dwordx4 v[144:147], v12, s[2:3] offset:736
	global_load_dwordx4 v[152:155], v12, s[2:3] offset:720
	s_waitcnt vmcnt(0) lgkmcnt(4)
	v_mul_f64 v[12:13], v[10:11], v[154:155]
	v_fma_f64 v[16:17], v[8:9], v[152:153], -v[12:13]
	v_mul_f64 v[8:9], v[8:9], v[154:155]
	v_fma_f64 v[18:19], v[10:11], v[152:153], v[8:9]
	s_waitcnt lgkmcnt(3)
	v_mul_f64 v[8:9], v[6:7], v[146:147]
	v_fma_f64 v[21:22], v[4:5], v[144:145], -v[8:9]
	v_mul_f64 v[4:5], v[4:5], v[146:147]
	v_mul_lo_u16_sdwa v8, v249, s20 dst_sel:DWORD dst_unused:UNUSED_PAD src0_sel:BYTE_0 src1_sel:DWORD
	v_lshrrev_b16_e32 v8, 13, v8
	v_mul_lo_u16_e32 v8, 48, v8
	v_sub_u16_e32 v8, v249, v8
	v_fma_f64 v[23:24], v[6:7], v[144:145], v[4:5]
	v_mul_lo_u16_sdwa v4, v208, s20 dst_sel:DWORD dst_unused:UNUSED_PAD src0_sel:BYTE_0 src1_sel:DWORD
	v_lshrrev_b16_e32 v4, 13, v4
	v_mul_lo_u16_e32 v4, 48, v4
	v_sub_u16_e32 v4, v208, v4
	v_and_b32_e32 v28, 0xff, v4
	v_lshlrev_b32_e32 v4, 5, v28
	global_load_dwordx4 v[148:151], v4, s[2:3] offset:736
	global_load_dwordx4 v[156:159], v4, s[2:3] offset:720
	s_waitcnt vmcnt(1) lgkmcnt(0)
	v_mul_f64 v[6:7], v[160:161], v[150:151]
	s_waitcnt vmcnt(0)
	v_mul_f64 v[4:5], v[2:3], v[158:159]
	buffer_store_dword v8, off, s[24:27], 0 offset:288 ; 4-byte Folded Spill
	v_lshlrev_b32_sdwa v8, v14, v8 dst_sel:DWORD dst_unused:UNUSED_PAD src0_sel:DWORD src1_sel:BYTE_0
	v_fma_f64 v[6:7], v[162:163], v[148:149], v[6:7]
	v_fma_f64 v[4:5], v[0:1], v[156:157], -v[4:5]
	v_mul_f64 v[0:1], v[0:1], v[158:159]
	v_fma_f64 v[0:1], v[2:3], v[156:157], v[0:1]
	v_mul_f64 v[2:3], v[162:163], v[150:151]
	v_fma_f64 v[2:3], v[160:161], v[148:149], -v[2:3]
	global_load_dwordx4 v[160:163], v8, s[2:3] offset:736
	global_load_dwordx4 v[164:167], v8, s[2:3] offset:720
	s_waitcnt lgkmcnt(0)
	; wave barrier
	s_waitcnt vmcnt(1)
	v_mul_f64 v[14:15], v[172:173], v[162:163]
	s_waitcnt vmcnt(0)
	v_mul_f64 v[8:9], v[170:171], v[166:167]
	v_mul_f64 v[10:11], v[168:169], v[166:167]
	v_fma_f64 v[14:15], v[174:175], v[160:161], v[14:15]
	v_fma_f64 v[8:9], v[168:169], v[164:165], -v[8:9]
	v_add_f64 v[168:169], v[29:30], v[40:41]
	v_add_f64 v[29:30], v[31:32], v[40:41]
	v_fma_f64 v[12:13], v[170:171], v[164:165], v[10:11]
	v_mul_f64 v[10:11], v[174:175], v[162:163]
	v_add_f64 v[170:171], v[33:34], -v[42:43]
	v_add_f64 v[31:32], v[31:32], -v[40:41]
	;; [unrolled: 1-line block ×3, first 2 shown]
	v_fma_f64 v[29:30], v[29:30], -0.5, v[196:197]
	v_fma_f64 v[10:11], v[172:173], v[160:161], -v[10:11]
	v_fma_f64 v[172:173], v[170:171], s[0:1], v[29:30]
	v_fma_f64 v[29:30], v[170:171], s[4:5], v[29:30]
	v_add_f64 v[170:171], v[198:199], v[33:34]
	v_add_f64 v[33:34], v[33:34], v[42:43]
	;; [unrolled: 1-line block ×3, first 2 shown]
	v_fma_f64 v[33:34], v[33:34], -0.5, v[198:199]
	v_fma_f64 v[174:175], v[31:32], s[4:5], v[33:34]
	v_fma_f64 v[31:32], v[31:32], s[0:1], v[33:34]
	v_add_f64 v[33:34], v[192:193], v[44:45]
	ds_write_b128 v36, v[168:171]
	ds_write_b128 v36, v[172:175] offset:768
	ds_write_b128 v36, v[29:32] offset:1536
	v_add_f64 v[196:197], v[33:34], v[211:212]
	v_add_f64 v[33:34], v[44:45], v[211:212]
	v_fma_f64 v[33:34], v[33:34], -0.5, v[192:193]
	v_fma_f64 v[192:193], v[40:41], s[0:1], v[33:34]
	v_fma_f64 v[209:210], v[40:41], s[4:5], v[33:34]
	v_add_f64 v[33:34], v[194:195], v[46:47]
	v_add_f64 v[40:41], v[44:45], -v[211:212]
	v_add_f64 v[198:199], v[33:34], v[213:214]
	v_add_f64 v[33:34], v[46:47], v[213:214]
	v_fma_f64 v[33:34], v[33:34], -0.5, v[194:195]
	v_fma_f64 v[194:195], v[40:41], s[4:5], v[33:34]
	v_fma_f64 v[211:212], v[40:41], s[0:1], v[33:34]
	v_add_f64 v[33:34], v[188:189], v[217:218]
	v_add_f64 v[40:41], v[219:220], -v[226:227]
	;; [unrolled: 7-line block ×4, first 2 shown]
	v_add_f64 v[228:229], v[33:34], v[21:22]
	v_add_f64 v[33:34], v[16:17], v[21:22]
	v_add_f64 v[16:17], v[16:17], -v[21:22]
	v_fma_f64 v[33:34], v[33:34], -0.5, v[184:185]
	v_fma_f64 v[184:185], v[40:41], s[0:1], v[33:34]
	v_fma_f64 v[232:233], v[40:41], s[4:5], v[33:34]
	v_add_f64 v[33:34], v[186:187], v[18:19]
	v_add_f64 v[18:19], v[18:19], v[23:24]
	;; [unrolled: 1-line block ×3, first 2 shown]
	v_fma_f64 v[18:19], v[18:19], -0.5, v[186:187]
	v_add_f64 v[23:24], v[0:1], -v[6:7]
	v_fma_f64 v[186:187], v[16:17], s[4:5], v[18:19]
	v_fma_f64 v[234:235], v[16:17], s[0:1], v[18:19]
	v_add_f64 v[18:19], v[4:5], v[2:3]
	v_add_f64 v[16:17], v[180:181], v[4:5]
	v_fma_f64 v[18:19], v[18:19], -0.5, v[180:181]
	v_add_f64 v[16:17], v[16:17], v[2:3]
	v_add_f64 v[2:3], v[4:5], -v[2:3]
	v_fma_f64 v[21:22], v[23:24], s[0:1], v[18:19]
	v_fma_f64 v[180:181], v[23:24], s[4:5], v[18:19]
	v_add_f64 v[18:19], v[182:183], v[0:1]
	v_add_f64 v[0:1], v[0:1], v[6:7]
	;; [unrolled: 1-line block ×3, first 2 shown]
	v_fma_f64 v[0:1], v[0:1], -0.5, v[182:183]
	v_fma_f64 v[23:24], v[2:3], s[4:5], v[0:1]
	v_fma_f64 v[182:183], v[2:3], s[0:1], v[0:1]
	v_add_f64 v[0:1], v[176:177], v[8:9]
	v_add_f64 v[2:3], v[12:13], -v[14:15]
	v_add_f64 v[220:221], v[0:1], v[10:11]
	v_add_f64 v[0:1], v[8:9], v[10:11]
	v_fma_f64 v[0:1], v[0:1], -0.5, v[176:177]
	v_fma_f64 v[240:241], v[2:3], s[0:1], v[0:1]
	v_fma_f64 v[244:245], v[2:3], s[4:5], v[0:1]
	v_add_f64 v[0:1], v[178:179], v[12:13]
	v_add_f64 v[2:3], v[8:9], -v[10:11]
	v_add_f64 v[222:223], v[0:1], v[14:15]
	v_add_f64 v[0:1], v[12:13], v[14:15]
	v_fma_f64 v[0:1], v[0:1], -0.5, v[178:179]
	v_fma_f64 v[242:243], v[2:3], s[4:5], v[0:1]
	v_fma_f64 v[246:247], v[2:3], s[0:1], v[0:1]
	v_cmp_lt_u16_e64 s[0:1], 20, v37
	v_mov_b32_e32 v0, 0x90
	v_cndmask_b32_e64 v0, 0, v0, s[0:1]
	v_add_u32_e32 v0, v20, v0
	v_lshlrev_b32_e32 v1, 4, v203
	v_lshl_add_u32 v0, v0, 4, v1
	ds_write_b128 v0, v[196:199]
	ds_write_b128 v0, v[192:195] offset:768
	buffer_store_dword v0, off, s[24:27], 0 offset:292 ; 4-byte Folded Spill
	ds_write_b128 v0, v[209:212] offset:1536
	ds_write_b128 v36, v[213:216] offset:2400
	v_lshl_add_u32 v0, v25, 4, v1
	buffer_store_dword v0, off, s[24:27], 0 offset:304 ; 4-byte Folded Spill
	ds_write_b128 v0, v[188:191] offset:3072
	ds_write_b128 v36, v[224:227] offset:3936
	v_mul_u32_u24_e32 v0, 0x90, v26
	v_add_u32_sdwa v0, v0, v27 dst_sel:DWORD dst_unused:UNUSED_PAD src0_sel:DWORD src1_sel:BYTE_0
	v_lshl_add_u32 v0, v0, 4, v1
	ds_write_b128 v0, v[228:231]
	ds_write_b128 v0, v[184:187] offset:768
	buffer_store_dword v0, off, s[24:27], 0 offset:296 ; 4-byte Folded Spill
	ds_write_b128 v0, v[232:235] offset:1536
	v_lshl_add_u32 v0, v28, 4, v1
	ds_write_b128 v0, v[16:19] offset:4608
	ds_write_b128 v0, v[21:24] offset:5376
	buffer_store_dword v0, off, s[24:27], 0 offset:300 ; 4-byte Folded Spill
	ds_write_b128 v0, v[180:183] offset:6144
	s_and_saveexec_b64 s[0:1], vcc
	s_cbranch_execz .LBB0_11
; %bb.10:
	buffer_load_dword v0, off, s[24:27], 0 offset:288 ; 4-byte Folded Reload
	v_lshlrev_b32_e32 v1, 4, v203
	s_waitcnt vmcnt(0)
	v_and_b32_e32 v0, 0xff, v0
	v_lshl_add_u32 v0, v0, 4, v1
	ds_write_b128 v0, v[220:223] offset:4608
	ds_write_b128 v0, v[240:243] offset:5376
	;; [unrolled: 1-line block ×3, first 2 shown]
.LBB0_11:
	s_or_b64 exec, exec, s[0:1]
	s_waitcnt lgkmcnt(0)
	; wave barrier
	s_waitcnt lgkmcnt(0)
	ds_read_b128 v[236:239], v36
	ds_read_b128 v[232:235], v36 offset:432
	ds_read_b128 v[28:31], v36 offset:4608
	;; [unrolled: 1-line block ×14, first 2 shown]
	s_and_saveexec_b64 s[0:1], vcc
	s_cbranch_execz .LBB0_13
; %bb.12:
	ds_read_b128 v[220:223], v36 offset:2160
	ds_read_b128 v[240:243], v36 offset:4464
	;; [unrolled: 1-line block ×3, first 2 shown]
.LBB0_13:
	s_or_b64 exec, exec, s[0:1]
	global_load_dwordx4 v[176:179], v[200:201], off offset:2272
	global_load_dwordx4 v[180:183], v[200:201], off offset:2256
	v_lshl_add_u32 v255, v203, 4, v202
	s_waitcnt vmcnt(0) lgkmcnt(4)
	v_mul_f64 v[40:41], v[34:35], v[182:183]
	v_fma_f64 v[40:41], v[32:33], v[180:181], -v[40:41]
	v_mul_f64 v[32:33], v[32:33], v[182:183]
	v_fma_f64 v[32:33], v[34:35], v[180:181], v[32:33]
	v_mul_f64 v[34:35], v[30:31], v[178:179]
	v_fma_f64 v[34:35], v[28:29], v[176:177], -v[34:35]
	v_mul_f64 v[28:29], v[28:29], v[178:179]
	v_fma_f64 v[28:29], v[30:31], v[176:177], v[28:29]
	v_lshlrev_b32_e32 v30, 5, v206
	global_load_dwordx4 v[184:187], v30, s[2:3] offset:2272
	global_load_dwordx4 v[188:191], v30, s[2:3] offset:2256
	s_waitcnt vmcnt(0)
	v_mul_f64 v[30:31], v[26:27], v[190:191]
	v_fma_f64 v[30:31], v[24:25], v[188:189], -v[30:31]
	v_mul_f64 v[24:25], v[24:25], v[190:191]
	v_fma_f64 v[24:25], v[26:27], v[188:189], v[24:25]
	v_mul_f64 v[26:27], v[22:23], v[186:187]
	v_fma_f64 v[26:27], v[20:21], v[184:185], -v[26:27]
	v_mul_f64 v[20:21], v[20:21], v[186:187]
	v_fma_f64 v[20:21], v[22:23], v[184:185], v[20:21]
	v_lshlrev_b32_e32 v22, 5, v205
	global_load_dwordx4 v[192:195], v22, s[2:3] offset:2272
	global_load_dwordx4 v[196:199], v22, s[2:3] offset:2256
	s_waitcnt vmcnt(0)
	v_mul_f64 v[22:23], v[14:15], v[198:199]
	v_fma_f64 v[42:43], v[12:13], v[196:197], -v[22:23]
	v_mul_f64 v[12:13], v[12:13], v[198:199]
	v_fma_f64 v[44:45], v[14:15], v[196:197], v[12:13]
	v_mul_f64 v[12:13], v[18:19], v[194:195]
	v_add_f64 v[14:15], v[24:25], -v[20:21]
	v_fma_f64 v[46:47], v[16:17], v[192:193], -v[12:13]
	v_mul_f64 v[12:13], v[16:17], v[194:195]
	v_add_f64 v[22:23], v[42:43], v[46:47]
	v_fma_f64 v[251:252], v[18:19], v[192:193], v[12:13]
	v_lshlrev_b32_e32 v12, 5, v204
	global_load_dwordx4 v[200:203], v12, s[2:3] offset:2272
	global_load_dwordx4 v[204:207], v12, s[2:3] offset:2256
	v_fma_f64 v[22:23], v[22:23], -0.5, v[228:229]
	s_waitcnt vmcnt(0) lgkmcnt(2)
	v_mul_f64 v[12:13], v[170:171], v[206:207]
	v_fma_f64 v[253:254], v[168:169], v[204:205], -v[12:13]
	v_mul_f64 v[12:13], v[168:169], v[206:207]
	v_fma_f64 v[48:49], v[170:171], v[204:205], v[12:13]
	v_mul_f64 v[12:13], v[10:11], v[202:203]
	v_fma_f64 v[50:51], v[8:9], v[200:201], -v[12:13]
	v_mul_f64 v[8:9], v[8:9], v[202:203]
	v_fma_f64 v[52:53], v[10:11], v[200:201], v[8:9]
	v_lshlrev_b32_e32 v8, 5, v208
	global_load_dwordx4 v[208:211], v8, s[2:3] offset:2272
	global_load_dwordx4 v[212:215], v8, s[2:3] offset:2256
	v_add_f64 v[10:11], v[30:31], v[26:27]
	v_fma_f64 v[10:11], v[10:11], -0.5, v[232:233]
	s_waitcnt vmcnt(0) lgkmcnt(1)
	v_mul_f64 v[8:9], v[6:7], v[214:215]
	v_fma_f64 v[54:55], v[4:5], v[212:213], -v[8:9]
	v_mul_f64 v[4:5], v[4:5], v[214:215]
	v_fma_f64 v[56:57], v[6:7], v[212:213], v[4:5]
	s_waitcnt lgkmcnt(0)
	v_mul_f64 v[4:5], v[2:3], v[210:211]
	v_fma_f64 v[58:59], v[0:1], v[208:209], -v[4:5]
	v_mul_f64 v[0:1], v[0:1], v[210:211]
	v_fma_f64 v[37:38], v[2:3], v[208:209], v[0:1]
	buffer_load_dword v0, off, s[24:27], 0  ; 4-byte Folded Reload
	v_mov_b32_e32 v2, s3
	s_mov_b32 s3, 0xbfebb67a
	s_waitcnt vmcnt(0)
	v_add_co_u32_e64 v0, s[0:1], -9, v0
	v_addc_co_u32_e64 v1, s[0:1], 0, -1, s[0:1]
	v_cndmask_b32_e32 v1, v1, v250, vcc
	v_cndmask_b32_e32 v0, v0, v249, vcc
	v_lshlrev_b64 v[0:1], 5, v[0:1]
	v_add_co_u32_e64 v0, s[0:1], s2, v0
	v_addc_co_u32_e64 v1, s[0:1], v2, v1, s[0:1]
	global_load_dwordx4 v[2:5], v[0:1], off offset:2272
	global_load_dwordx4 v[6:9], v[0:1], off offset:2256
	s_mov_b32 s0, 0xe8584caa
	s_mov_b32 s1, 0x3febb67a
	s_mov_b32 s2, s0
	v_fma_f64 v[12:13], v[14:15], s[0:1], v[10:11]
	v_fma_f64 v[16:17], v[14:15], s[2:3], v[10:11]
	v_add_f64 v[10:11], v[234:235], v[24:25]
	v_add_f64 v[14:15], v[24:25], v[20:21]
	;; [unrolled: 1-line block ×3, first 2 shown]
	v_fma_f64 v[18:19], v[14:15], -0.5, v[234:235]
	v_add_f64 v[20:21], v[30:31], -v[26:27]
	v_fma_f64 v[14:15], v[20:21], s[2:3], v[18:19]
	v_fma_f64 v[18:19], v[20:21], s[0:1], v[18:19]
	v_add_f64 v[20:21], v[228:229], v[42:43]
	v_add_f64 v[20:21], v[20:21], v[46:47]
	s_waitcnt vmcnt(0)
	v_mul_f64 v[0:1], v[242:243], v[8:9]
	v_fma_f64 v[168:169], v[240:241], v[6:7], -v[0:1]
	v_mul_f64 v[0:1], v[240:241], v[8:9]
	buffer_store_dword v6, off, s[24:27], 0 offset:328 ; 4-byte Folded Spill
	s_nop 0
	buffer_store_dword v7, off, s[24:27], 0 offset:332 ; 4-byte Folded Spill
	buffer_store_dword v8, off, s[24:27], 0 offset:336 ; 4-byte Folded Spill
	;; [unrolled: 1-line block ×3, first 2 shown]
	v_add_f64 v[8:9], v[40:41], -v[34:35]
	v_fma_f64 v[170:171], v[242:243], v[6:7], v[0:1]
	v_mul_f64 v[0:1], v[246:247], v[4:5]
	v_fma_f64 v[172:173], v[244:245], v[2:3], -v[0:1]
	v_mul_f64 v[0:1], v[244:245], v[4:5]
	buffer_store_dword v2, off, s[24:27], 0 offset:312 ; 4-byte Folded Spill
	s_nop 0
	buffer_store_dword v3, off, s[24:27], 0 offset:316 ; 4-byte Folded Spill
	buffer_store_dword v4, off, s[24:27], 0 offset:320 ; 4-byte Folded Spill
	;; [unrolled: 1-line block ×3, first 2 shown]
	v_add_f64 v[4:5], v[32:33], -v[28:29]
	v_fma_f64 v[174:175], v[246:247], v[2:3], v[0:1]
	v_add_f64 v[0:1], v[236:237], v[40:41]
	v_add_f64 v[240:241], v[0:1], v[34:35]
	;; [unrolled: 1-line block ×4, first 2 shown]
	v_add_f64 v[40:41], v[48:49], -v[52:53]
	v_fma_f64 v[2:3], v[0:1], -0.5, v[236:237]
	v_fma_f64 v[34:35], v[34:35], -0.5, v[224:225]
	v_fma_f64 v[0:1], v[4:5], s[0:1], v[2:3]
	v_fma_f64 v[4:5], v[4:5], s[2:3], v[2:3]
	v_add_f64 v[2:3], v[238:239], v[32:33]
	v_fma_f64 v[228:229], v[40:41], s[0:1], v[34:35]
	v_add_f64 v[242:243], v[2:3], v[28:29]
	v_add_f64 v[2:3], v[32:33], v[28:29]
	v_add_f64 v[32:33], v[42:43], -v[46:47]
	v_add_f64 v[42:43], v[253:254], -v[50:51]
	v_fma_f64 v[6:7], v[2:3], -0.5, v[238:239]
	v_fma_f64 v[2:3], v[8:9], s[2:3], v[6:7]
	v_fma_f64 v[6:7], v[8:9], s[0:1], v[6:7]
	v_add_f64 v[8:9], v[232:233], v[30:31]
	v_fma_f64 v[232:233], v[40:41], s[2:3], v[34:35]
	v_add_f64 v[40:41], v[48:49], v[52:53]
	v_add_f64 v[34:35], v[226:227], v[48:49]
	;; [unrolled: 1-line block ×3, first 2 shown]
	v_add_f64 v[26:27], v[44:45], -v[251:252]
	v_fma_f64 v[40:41], v[40:41], -0.5, v[226:227]
	v_add_f64 v[34:35], v[34:35], v[52:53]
	v_fma_f64 v[24:25], v[26:27], s[0:1], v[22:23]
	v_fma_f64 v[28:29], v[26:27], s[2:3], v[22:23]
	v_add_f64 v[26:27], v[44:45], v[251:252]
	v_add_f64 v[22:23], v[230:231], v[44:45]
	v_fma_f64 v[234:235], v[42:43], s[0:1], v[40:41]
	v_fma_f64 v[30:31], v[26:27], -0.5, v[230:231]
	v_fma_f64 v[230:231], v[42:43], s[2:3], v[40:41]
	v_add_f64 v[40:41], v[216:217], v[54:55]
	v_add_f64 v[42:43], v[56:57], -v[37:38]
	v_add_f64 v[22:23], v[22:23], v[251:252]
	v_fma_f64 v[26:27], v[32:33], s[2:3], v[30:31]
	v_fma_f64 v[30:31], v[32:33], s[0:1], v[30:31]
	v_add_f64 v[236:237], v[40:41], v[58:59]
	v_add_f64 v[40:41], v[54:55], v[58:59]
	;; [unrolled: 1-line block ×3, first 2 shown]
	v_fma_f64 v[40:41], v[40:41], -0.5, v[216:217]
	v_add_f64 v[32:33], v[32:33], v[50:51]
	v_fma_f64 v[244:245], v[42:43], s[0:1], v[40:41]
	v_fma_f64 v[249:250], v[42:43], s[2:3], v[40:41]
	v_add_f64 v[40:41], v[218:219], v[56:57]
	v_add_f64 v[238:239], v[40:41], v[37:38]
	;; [unrolled: 1-line block ×3, first 2 shown]
	v_add_f64 v[40:41], v[54:55], -v[58:59]
	v_fma_f64 v[37:38], v[37:38], -0.5, v[218:219]
	v_fma_f64 v[246:247], v[40:41], s[2:3], v[37:38]
	v_fma_f64 v[251:252], v[40:41], s[0:1], v[37:38]
	v_add_f64 v[37:38], v[220:221], v[168:169]
	v_add_f64 v[40:41], v[170:171], -v[174:175]
	ds_write_b128 v36, v[240:243]
	ds_write_b128 v36, v[0:3] offset:2304
	ds_write_b128 v36, v[4:7] offset:4608
	;; [unrolled: 1-line block ×14, first 2 shown]
	v_add_f64 v[216:217], v[37:38], v[172:173]
	v_add_f64 v[37:38], v[168:169], v[172:173]
	v_fma_f64 v[37:38], v[37:38], -0.5, v[220:221]
	v_fma_f64 v[220:221], v[40:41], s[0:1], v[37:38]
	v_fma_f64 v[224:225], v[40:41], s[2:3], v[37:38]
	v_add_f64 v[37:38], v[222:223], v[170:171]
	v_add_f64 v[40:41], v[168:169], -v[172:173]
	v_mov_b32_e32 v168, v255
	v_add_f64 v[218:219], v[37:38], v[174:175]
	v_add_f64 v[37:38], v[170:171], v[174:175]
	v_fma_f64 v[37:38], v[37:38], -0.5, v[222:223]
	v_fma_f64 v[222:223], v[40:41], s[2:3], v[37:38]
	v_fma_f64 v[226:227], v[40:41], s[0:1], v[37:38]
	s_and_saveexec_b64 s[0:1], vcc
	s_cbranch_execz .LBB0_15
; %bb.14:
	ds_write_b128 v36, v[216:219] offset:2160
	ds_write_b128 v36, v[220:223] offset:4464
	;; [unrolled: 1-line block ×3, first 2 shown]
.LBB0_15:
	s_or_b64 exec, exec, s[0:1]
	s_waitcnt lgkmcnt(0)
	; wave barrier
	s_waitcnt lgkmcnt(0)
	buffer_load_dword v0, off, s[24:27], 0  ; 4-byte Folded Reload
	s_add_u32 s2, s12, 0x1b00
	s_addc_u32 s3, s13, 0
	ds_read_b128 v[5:8], v36
	v_mov_b32_e32 v1, s3
	s_waitcnt vmcnt(0)
	v_lshlrev_b32_e32 v4, 4, v0
	global_load_dwordx4 v[9:12], v4, s[2:3]
	v_add_co_u32_e64 v0, s[0:1], s2, v4
	v_addc_co_u32_e64 v1, s[0:1], 0, v1, s[0:1]
	s_movk_i32 s0, 0x1000
	s_waitcnt vmcnt(0) lgkmcnt(0)
	v_mul_f64 v[2:3], v[7:8], v[11:12]
	v_fma_f64 v[13:14], v[5:6], v[9:10], -v[2:3]
	v_mul_f64 v[2:3], v[5:6], v[11:12]
	v_fma_f64 v[15:16], v[7:8], v[9:10], v[2:3]
	global_load_dwordx4 v[9:12], v4, s[2:3] offset:2304
	ds_read_b128 v[5:8], v36 offset:2304
	ds_write_b128 v36, v[13:16]
	s_waitcnt vmcnt(0) lgkmcnt(1)
	v_mul_f64 v[2:3], v[7:8], v[11:12]
	v_fma_f64 v[13:14], v[5:6], v[9:10], -v[2:3]
	v_mul_f64 v[2:3], v[5:6], v[11:12]
	v_fma_f64 v[15:16], v[7:8], v[9:10], v[2:3]
	global_load_dwordx4 v[9:12], v248, s[2:3]
	ds_read_b128 v[5:8], v36 offset:4608
	ds_write_b128 v36, v[13:16] offset:2304
	s_waitcnt vmcnt(0) lgkmcnt(1)
	v_mul_f64 v[2:3], v[7:8], v[11:12]
	v_fma_f64 v[13:14], v[5:6], v[9:10], -v[2:3]
	v_mul_f64 v[2:3], v[5:6], v[11:12]
	v_fma_f64 v[15:16], v[7:8], v[9:10], v[2:3]
	global_load_dwordx4 v[9:12], v4, s[2:3] offset:432
	ds_read_b128 v[5:8], v36 offset:432
	ds_write_b128 v36, v[13:16] offset:4608
	s_waitcnt vmcnt(0) lgkmcnt(1)
	v_mul_f64 v[2:3], v[7:8], v[11:12]
	v_fma_f64 v[13:14], v[5:6], v[9:10], -v[2:3]
	v_mul_f64 v[2:3], v[5:6], v[11:12]
	v_fma_f64 v[15:16], v[7:8], v[9:10], v[2:3]
	global_load_dwordx4 v[9:12], v4, s[2:3] offset:2736
	ds_read_b128 v[5:8], v36 offset:2736
	ds_write_b128 v36, v[13:16] offset:432
	s_waitcnt vmcnt(0) lgkmcnt(1)
	v_mul_f64 v[2:3], v[7:8], v[11:12]
	v_fma_f64 v[13:14], v[5:6], v[9:10], -v[2:3]
	v_mul_f64 v[2:3], v[5:6], v[11:12]
	v_fma_f64 v[15:16], v[7:8], v[9:10], v[2:3]
	v_add_co_u32_e64 v2, s[0:1], s0, v0
	v_addc_co_u32_e64 v3, s[0:1], 0, v1, s[0:1]
	global_load_dwordx4 v[9:12], v[2:3], off offset:944
	ds_read_b128 v[5:8], v36 offset:5040
	ds_write_b128 v36, v[13:16] offset:2736
	s_waitcnt vmcnt(0) lgkmcnt(1)
	v_mul_f64 v[13:14], v[7:8], v[11:12]
	v_fma_f64 v[13:14], v[5:6], v[9:10], -v[13:14]
	v_mul_f64 v[5:6], v[5:6], v[11:12]
	v_fma_f64 v[15:16], v[7:8], v[9:10], v[5:6]
	global_load_dwordx4 v[9:12], v4, s[2:3] offset:864
	ds_read_b128 v[5:8], v36 offset:864
	ds_write_b128 v36, v[13:16] offset:5040
	s_waitcnt vmcnt(0) lgkmcnt(1)
	v_mul_f64 v[13:14], v[7:8], v[11:12]
	v_fma_f64 v[13:14], v[5:6], v[9:10], -v[13:14]
	v_mul_f64 v[5:6], v[5:6], v[11:12]
	v_fma_f64 v[15:16], v[7:8], v[9:10], v[5:6]
	global_load_dwordx4 v[9:12], v4, s[2:3] offset:3168
	ds_read_b128 v[5:8], v36 offset:3168
	ds_write_b128 v36, v[13:16] offset:864
	s_waitcnt vmcnt(0) lgkmcnt(1)
	v_mul_f64 v[13:14], v[7:8], v[11:12]
	v_fma_f64 v[13:14], v[5:6], v[9:10], -v[13:14]
	v_mul_f64 v[5:6], v[5:6], v[11:12]
	v_fma_f64 v[15:16], v[7:8], v[9:10], v[5:6]
	global_load_dwordx4 v[9:12], v[2:3], off offset:1376
	ds_read_b128 v[5:8], v36 offset:5472
	ds_write_b128 v36, v[13:16] offset:3168
	s_waitcnt vmcnt(0) lgkmcnt(1)
	v_mul_f64 v[13:14], v[7:8], v[11:12]
	v_fma_f64 v[13:14], v[5:6], v[9:10], -v[13:14]
	v_mul_f64 v[5:6], v[5:6], v[11:12]
	v_fma_f64 v[15:16], v[7:8], v[9:10], v[5:6]
	global_load_dwordx4 v[9:12], v4, s[2:3] offset:1296
	ds_read_b128 v[5:8], v36 offset:1296
	ds_write_b128 v36, v[13:16] offset:5472
	s_waitcnt vmcnt(0) lgkmcnt(1)
	v_mul_f64 v[13:14], v[7:8], v[11:12]
	v_fma_f64 v[13:14], v[5:6], v[9:10], -v[13:14]
	v_mul_f64 v[5:6], v[5:6], v[11:12]
	v_fma_f64 v[15:16], v[7:8], v[9:10], v[5:6]
	global_load_dwordx4 v[9:12], v4, s[2:3] offset:3600
	ds_read_b128 v[5:8], v36 offset:3600
	ds_write_b128 v36, v[13:16] offset:1296
	s_waitcnt vmcnt(0) lgkmcnt(1)
	v_mul_f64 v[13:14], v[7:8], v[11:12]
	v_fma_f64 v[13:14], v[5:6], v[9:10], -v[13:14]
	v_mul_f64 v[5:6], v[5:6], v[11:12]
	v_fma_f64 v[15:16], v[7:8], v[9:10], v[5:6]
	;; [unrolled: 24-line block ×3, first 2 shown]
	global_load_dwordx4 v[8:11], v[2:3], off offset:2240
	ds_read_b128 v[4:7], v36 offset:6336
	ds_write_b128 v36, v[13:16] offset:4032
	s_waitcnt vmcnt(0) lgkmcnt(1)
	v_mul_f64 v[12:13], v[6:7], v[10:11]
	v_fma_f64 v[12:13], v[4:5], v[8:9], -v[12:13]
	v_mul_f64 v[4:5], v[4:5], v[10:11]
	v_fma_f64 v[14:15], v[6:7], v[8:9], v[4:5]
	ds_write_b128 v36, v[12:15] offset:6336
	s_and_saveexec_b64 s[0:1], vcc
	s_cbranch_execz .LBB0_17
; %bb.16:
	global_load_dwordx4 v[8:11], v[0:1], off offset:2160
	ds_read_b128 v[4:7], v36 offset:2160
	s_waitcnt vmcnt(0) lgkmcnt(0)
	v_mul_f64 v[0:1], v[6:7], v[10:11]
	v_fma_f64 v[12:13], v[4:5], v[8:9], -v[0:1]
	v_mul_f64 v[0:1], v[4:5], v[10:11]
	v_fma_f64 v[14:15], v[6:7], v[8:9], v[0:1]
	global_load_dwordx4 v[8:11], v[2:3], off offset:368
	ds_read_b128 v[4:7], v36 offset:4464
	ds_write_b128 v36, v[12:15] offset:2160
	s_waitcnt vmcnt(0) lgkmcnt(1)
	v_mul_f64 v[0:1], v[6:7], v[10:11]
	v_fma_f64 v[12:13], v[4:5], v[8:9], -v[0:1]
	v_mul_f64 v[0:1], v[4:5], v[10:11]
	v_fma_f64 v[14:15], v[6:7], v[8:9], v[0:1]
	global_load_dwordx4 v[0:3], v[2:3], off offset:2672
	ds_read_b128 v[4:7], v36 offset:6768
	ds_write_b128 v36, v[12:15] offset:4464
	s_waitcnt vmcnt(0) lgkmcnt(1)
	v_mul_f64 v[8:9], v[6:7], v[2:3]
	v_mul_f64 v[2:3], v[4:5], v[2:3]
	v_fma_f64 v[8:9], v[4:5], v[0:1], -v[8:9]
	v_fma_f64 v[10:11], v[6:7], v[0:1], v[2:3]
	ds_write_b128 v36, v[8:11] offset:6768
.LBB0_17:
	s_or_b64 exec, exec, s[0:1]
	s_waitcnt lgkmcnt(0)
	; wave barrier
	s_waitcnt lgkmcnt(0)
	ds_read_b128 v[28:31], v36
	ds_read_b128 v[12:15], v36 offset:432
	ds_read_b128 v[24:27], v36 offset:4608
	;; [unrolled: 1-line block ×14, first 2 shown]
	s_and_saveexec_b64 s[0:1], vcc
	s_cbranch_execz .LBB0_19
; %bb.18:
	ds_read_b128 v[216:219], v36 offset:2160
	ds_read_b128 v[220:223], v36 offset:4464
	;; [unrolled: 1-line block ×3, first 2 shown]
.LBB0_19:
	s_or_b64 exec, exec, s[0:1]
	s_waitcnt lgkmcnt(4)
	v_add_f64 v[37:38], v[28:29], v[32:33]
	v_add_f64 v[40:41], v[34:35], -v[26:27]
	s_mov_b32 s0, 0xe8584caa
	s_mov_b32 s1, 0xbfebb67a
	;; [unrolled: 1-line block ×4, first 2 shown]
	s_waitcnt lgkmcnt(2)
	v_add_f64 v[44:45], v[252:253], -v[248:249]
	s_waitcnt lgkmcnt(0)
	v_add_f64 v[46:47], v[232:233], -v[240:241]
	v_add_f64 v[236:237], v[37:38], v[24:25]
	v_add_f64 v[37:38], v[32:33], v[24:25]
	v_add_f64 v[24:25], v[32:33], -v[24:25]
	v_add_f64 v[32:33], v[22:23], -v[18:19]
	;; [unrolled: 1-line block ×3, first 2 shown]
	s_waitcnt lgkmcnt(0)
	; wave barrier
	v_fma_f64 v[37:38], v[37:38], -0.5, v[28:29]
	v_fma_f64 v[28:29], v[40:41], s[0:1], v[37:38]
	v_fma_f64 v[40:41], v[40:41], s[2:3], v[37:38]
	v_add_f64 v[37:38], v[30:31], v[34:35]
	v_add_f64 v[238:239], v[37:38], v[26:27]
	;; [unrolled: 1-line block ×3, first 2 shown]
	v_fma_f64 v[26:27], v[26:27], -0.5, v[30:31]
	v_fma_f64 v[30:31], v[24:25], s[2:3], v[26:27]
	v_fma_f64 v[42:43], v[24:25], s[0:1], v[26:27]
	v_add_f64 v[26:27], v[20:21], v[16:17]
	v_add_f64 v[24:25], v[12:13], v[20:21]
	v_fma_f64 v[26:27], v[26:27], -0.5, v[12:13]
	v_add_f64 v[24:25], v[24:25], v[16:17]
	v_add_f64 v[16:17], v[20:21], -v[16:17]
	v_add_f64 v[20:21], v[2:3], -v[10:11]
	v_fma_f64 v[12:13], v[32:33], s[0:1], v[26:27]
	v_fma_f64 v[32:33], v[32:33], s[2:3], v[26:27]
	v_add_f64 v[26:27], v[14:15], v[22:23]
	v_add_f64 v[26:27], v[26:27], v[18:19]
	;; [unrolled: 1-line block ×3, first 2 shown]
	v_fma_f64 v[18:19], v[18:19], -0.5, v[14:15]
	v_fma_f64 v[14:15], v[16:17], s[2:3], v[18:19]
	v_fma_f64 v[34:35], v[16:17], s[0:1], v[18:19]
	v_add_f64 v[18:19], v[0:1], v[8:9]
	v_add_f64 v[16:17], v[4:5], v[0:1]
	v_add_f64 v[0:1], v[0:1], -v[8:9]
	v_fma_f64 v[18:19], v[18:19], -0.5, v[4:5]
	v_add_f64 v[16:17], v[16:17], v[8:9]
	v_fma_f64 v[4:5], v[20:21], s[0:1], v[18:19]
	v_fma_f64 v[20:21], v[20:21], s[2:3], v[18:19]
	v_add_f64 v[18:19], v[6:7], v[2:3]
	v_add_f64 v[2:3], v[2:3], v[10:11]
	;; [unrolled: 1-line block ×3, first 2 shown]
	v_fma_f64 v[2:3], v[2:3], -0.5, v[6:7]
	v_add_f64 v[10:11], v[254:255], -v[250:251]
	v_fma_f64 v[6:7], v[0:1], s[2:3], v[2:3]
	v_fma_f64 v[22:23], v[0:1], s[0:1], v[2:3]
	v_add_f64 v[2:3], v[252:253], v[248:249]
	v_add_f64 v[0:1], v[244:245], v[252:253]
	v_fma_f64 v[2:3], v[2:3], -0.5, v[244:245]
	v_add_f64 v[0:1], v[0:1], v[248:249]
	v_fma_f64 v[8:9], v[10:11], s[0:1], v[2:3]
	v_fma_f64 v[244:245], v[10:11], s[2:3], v[2:3]
	v_add_f64 v[10:11], v[254:255], v[250:251]
	v_add_f64 v[2:3], v[246:247], v[254:255]
	v_fma_f64 v[37:38], v[10:11], -0.5, v[246:247]
	v_add_f64 v[2:3], v[2:3], v[250:251]
	v_fma_f64 v[10:11], v[44:45], s[2:3], v[37:38]
	v_fma_f64 v[246:247], v[44:45], s[0:1], v[37:38]
	v_add_f64 v[37:38], v[228:229], v[232:233]
	v_add_f64 v[44:45], v[234:235], -v[242:243]
	v_add_f64 v[248:249], v[37:38], v[240:241]
	v_add_f64 v[37:38], v[232:233], v[240:241]
	v_fma_f64 v[37:38], v[37:38], -0.5, v[228:229]
	v_fma_f64 v[252:253], v[44:45], s[0:1], v[37:38]
	v_fma_f64 v[44:45], v[44:45], s[2:3], v[37:38]
	v_add_f64 v[37:38], v[230:231], v[234:235]
	v_add_f64 v[250:251], v[37:38], v[242:243]
	;; [unrolled: 1-line block ×3, first 2 shown]
	v_fma_f64 v[37:38], v[37:38], -0.5, v[230:231]
	v_fma_f64 v[254:255], v[46:47], s[2:3], v[37:38]
	v_fma_f64 v[46:47], v[46:47], s[0:1], v[37:38]
	v_add_f64 v[37:38], v[220:221], v[224:225]
	v_fma_f64 v[37:38], v[37:38], -0.5, v[216:217]
	v_fma_f64 v[228:229], v[48:49], s[0:1], v[37:38]
	v_fma_f64 v[232:233], v[48:49], s[2:3], v[37:38]
	v_add_f64 v[37:38], v[222:223], v[226:227]
	v_add_f64 v[48:49], v[220:221], -v[224:225]
	v_fma_f64 v[37:38], v[37:38], -0.5, v[218:219]
	v_fma_f64 v[230:231], v[48:49], s[2:3], v[37:38]
	v_fma_f64 v[234:235], v[48:49], s[0:1], v[37:38]
	buffer_load_dword v37, off, s[24:27], 0 offset:268 ; 4-byte Folded Reload
	s_waitcnt vmcnt(0)
	ds_write_b128 v37, v[236:239]
	ds_write_b128 v37, v[28:31] offset:16
	ds_write_b128 v37, v[40:43] offset:32
	buffer_load_dword v28, off, s[24:27], 0 offset:272 ; 4-byte Folded Reload
	s_waitcnt vmcnt(0)
	ds_write_b128 v28, v[24:27]
	ds_write_b128 v28, v[12:15] offset:16
	ds_write_b128 v28, v[32:35] offset:32
	;; [unrolled: 5-line block ×5, first 2 shown]
	s_and_saveexec_b64 s[0:1], vcc
	s_cbranch_execz .LBB0_21
; %bb.20:
	v_add_f64 v[0:1], v[218:219], v[222:223]
	v_add_f64 v[4:5], v[216:217], v[220:221]
	;; [unrolled: 1-line block ×4, first 2 shown]
	buffer_load_dword v4, off, s[24:27], 0 offset:264 ; 4-byte Folded Reload
	buffer_load_dword v5, off, s[24:27], 0 offset:308 ; 4-byte Folded Reload
	s_waitcnt vmcnt(0)
	v_lshl_add_u32 v4, v5, 4, v4
	ds_write_b128 v4, v[228:231] offset:16
	ds_write_b128 v4, v[0:3]
	ds_write_b128 v4, v[232:235] offset:32
.LBB0_21:
	s_or_b64 exec, exec, s[0:1]
	s_waitcnt lgkmcnt(0)
	; wave barrier
	s_waitcnt lgkmcnt(0)
	ds_read_b128 v[0:3], v36
	ds_read_b128 v[4:7], v36 offset:432
	ds_read_b128 v[8:11], v36 offset:864
	;; [unrolled: 1-line block ×15, first 2 shown]
	s_waitcnt lgkmcnt(14)
	v_mul_f64 v[37:38], v[94:95], v[6:7]
	s_waitcnt lgkmcnt(3)
	v_mul_f64 v[50:51], v[86:87], v[222:223]
	v_mul_f64 v[52:53], v[86:87], v[220:221]
	s_waitcnt lgkmcnt(1)
	v_mul_f64 v[58:59], v[110:111], v[238:239]
	v_mul_f64 v[48:49], v[90:91], v[216:217]
	;; [unrolled: 1-line block ×4, first 2 shown]
	s_mov_b32 s0, 0x667f3bcd
	v_fma_f64 v[37:38], v[92:93], v[4:5], v[37:38]
	v_mul_f64 v[4:5], v[94:95], v[4:5]
	v_fma_f64 v[50:51], v[84:85], v[220:221], v[50:51]
	v_fma_f64 v[58:59], v[108:109], v[236:237], v[58:59]
	v_fma_f64 v[52:53], v[84:85], v[222:223], -v[52:53]
	v_fma_f64 v[48:49], v[88:89], v[218:219], -v[48:49]
	;; [unrolled: 1-line block ×3, first 2 shown]
	v_fma_f64 v[54:55], v[116:117], v[224:225], v[54:55]
	s_mov_b32 s1, 0xbfe6a09e
	v_fma_f64 v[4:5], v[92:93], v[6:7], -v[4:5]
	v_mul_f64 v[6:7], v[78:79], v[10:11]
	s_mov_b32 s3, 0x3fe6a09e
	s_mov_b32 s2, s0
	;; [unrolled: 1-line block ×7, first 2 shown]
	v_fma_f64 v[6:7], v[76:77], v[8:9], v[6:7]
	v_mul_f64 v[8:9], v[78:79], v[8:9]
	s_mov_b32 s4, s12
	s_mov_b32 s17, 0x3fed906b
	;; [unrolled: 1-line block ×3, first 2 shown]
	s_waitcnt lgkmcnt(0)
	; wave barrier
	s_waitcnt lgkmcnt(0)
	v_fma_f64 v[8:9], v[76:77], v[10:11], -v[8:9]
	v_mul_f64 v[10:11], v[70:71], v[14:15]
	v_fma_f64 v[10:11], v[68:69], v[12:13], v[10:11]
	v_mul_f64 v[12:13], v[70:71], v[12:13]
	v_fma_f64 v[12:13], v[68:69], v[14:15], -v[12:13]
	v_mul_f64 v[14:15], v[62:63], v[18:19]
	v_add_f64 v[48:49], v[12:13], -v[48:49]
	v_fma_f64 v[14:15], v[60:61], v[16:17], v[14:15]
	v_mul_f64 v[16:17], v[62:63], v[16:17]
	v_mul_f64 v[62:63], v[102:103], v[242:243]
	v_fma_f64 v[12:13], v[12:13], 2.0, -v[48:49]
	v_add_f64 v[50:51], v[14:15], -v[50:51]
	v_fma_f64 v[16:17], v[60:61], v[18:19], -v[16:17]
	v_mul_f64 v[18:19], v[106:107], v[22:23]
	v_mul_f64 v[60:61], v[110:111], v[236:237]
	v_fma_f64 v[62:63], v[100:101], v[240:241], v[62:63]
	v_fma_f64 v[14:15], v[14:15], 2.0, -v[50:51]
	v_add_f64 v[52:53], v[16:17], -v[52:53]
	v_fma_f64 v[18:19], v[104:105], v[20:21], v[18:19]
	v_mul_f64 v[20:21], v[106:107], v[20:21]
	v_fma_f64 v[60:61], v[108:109], v[238:239], -v[60:61]
	v_fma_f64 v[16:17], v[16:17], 2.0, -v[52:53]
	v_add_f64 v[54:55], v[18:19], -v[54:55]
	v_fma_f64 v[20:21], v[104:105], v[22:23], -v[20:21]
	v_mul_f64 v[22:23], v[82:83], v[26:27]
	v_fma_f64 v[18:19], v[18:19], 2.0, -v[54:55]
	v_add_f64 v[56:57], v[20:21], -v[56:57]
	v_fma_f64 v[22:23], v[80:81], v[24:25], v[22:23]
	v_mul_f64 v[24:25], v[82:83], v[24:25]
	v_fma_f64 v[20:21], v[20:21], 2.0, -v[56:57]
	v_add_f64 v[58:59], v[22:23], -v[58:59]
	v_fma_f64 v[24:25], v[80:81], v[26:27], -v[24:25]
	v_mul_f64 v[26:27], v[74:75], v[30:31]
	v_fma_f64 v[22:23], v[22:23], 2.0, -v[58:59]
	v_add_f64 v[60:61], v[24:25], -v[60:61]
	v_fma_f64 v[26:27], v[72:73], v[28:29], v[26:27]
	v_mul_f64 v[28:29], v[74:75], v[28:29]
	;; [unrolled: 8-line block ×3, first 2 shown]
	v_fma_f64 v[48:49], v[48:49], 2.0, -v[62:63]
	v_add_f64 v[30:31], v[0:1], -v[30:31]
	v_fma_f64 v[32:33], v[64:65], v[34:35], -v[32:33]
	v_mul_f64 v[34:35], v[114:115], v[42:43]
	v_mul_f64 v[64:65], v[102:103], v[240:241]
	v_fma_f64 v[0:1], v[0:1], 2.0, -v[30:31]
	v_add_f64 v[32:33], v[2:3], -v[32:33]
	v_fma_f64 v[34:35], v[112:113], v[40:41], v[34:35]
	v_mul_f64 v[40:41], v[114:115], v[40:41]
	v_fma_f64 v[64:65], v[100:101], v[242:243], -v[64:65]
	v_add_f64 v[52:53], v[30:31], v[52:53]
	v_add_f64 v[14:15], v[0:1], -v[14:15]
	v_fma_f64 v[2:3], v[2:3], 2.0, -v[32:33]
	v_add_f64 v[50:51], v[32:33], -v[50:51]
	v_fma_f64 v[40:41], v[112:113], v[42:43], -v[40:41]
	v_mul_f64 v[42:43], v[98:99], v[46:47]
	v_add_f64 v[64:65], v[28:29], -v[64:65]
	v_fma_f64 v[30:31], v[30:31], 2.0, -v[52:53]
	v_add_f64 v[34:35], v[37:38], -v[34:35]
	v_fma_f64 v[0:1], v[0:1], 2.0, -v[14:15]
	;; [unrolled: 2-line block ×3, first 2 shown]
	v_add_f64 v[40:41], v[4:5], -v[40:41]
	v_fma_f64 v[42:43], v[96:97], v[44:45], v[42:43]
	v_mul_f64 v[44:45], v[98:99], v[44:45]
	v_fma_f64 v[28:29], v[28:29], 2.0, -v[64:65]
	v_fma_f64 v[37:38], v[37:38], 2.0, -v[34:35]
	v_add_f64 v[56:57], v[34:35], v[56:57]
	v_fma_f64 v[2:3], v[2:3], 2.0, -v[16:17]
	v_fma_f64 v[4:5], v[4:5], 2.0, -v[40:41]
	v_add_f64 v[42:43], v[6:7], -v[42:43]
	v_fma_f64 v[44:45], v[96:97], v[46:47], -v[44:45]
	v_mul_f64 v[46:47], v[90:91], v[218:219]
	v_add_f64 v[28:29], v[12:13], -v[28:29]
	v_add_f64 v[18:19], v[37:38], -v[18:19]
	v_add_f64 v[54:55], v[40:41], -v[54:55]
	v_fma_f64 v[34:35], v[34:35], 2.0, -v[56:57]
	v_add_f64 v[20:21], v[4:5], -v[20:21]
	v_fma_f64 v[6:7], v[6:7], 2.0, -v[42:43]
	v_add_f64 v[44:45], v[8:9], -v[44:45]
	v_add_f64 v[60:61], v[42:43], v[60:61]
	v_fma_f64 v[46:47], v[88:89], v[216:217], v[46:47]
	v_fma_f64 v[12:13], v[12:13], 2.0, -v[28:29]
	v_fma_f64 v[37:38], v[37:38], 2.0, -v[18:19]
	v_fma_f64 v[40:41], v[40:41], 2.0, -v[54:55]
	v_fma_f64 v[4:5], v[4:5], 2.0, -v[20:21]
	v_add_f64 v[22:23], v[6:7], -v[22:23]
	v_fma_f64 v[8:9], v[8:9], 2.0, -v[44:45]
	v_add_f64 v[58:59], v[44:45], -v[58:59]
	v_fma_f64 v[42:43], v[42:43], 2.0, -v[60:61]
	v_add_f64 v[46:47], v[10:11], -v[46:47]
	v_fma_f64 v[6:7], v[6:7], 2.0, -v[22:23]
	v_add_f64 v[24:25], v[8:9], -v[24:25]
	v_fma_f64 v[44:45], v[44:45], 2.0, -v[58:59]
	v_add_f64 v[76:77], v[16:17], -v[22:23]
	v_fma_f64 v[10:11], v[10:11], 2.0, -v[46:47]
	v_add_f64 v[64:65], v[46:47], v[64:65]
	v_add_f64 v[66:67], v[0:1], -v[6:7]
	v_fma_f64 v[8:9], v[8:9], 2.0, -v[24:25]
	v_add_f64 v[74:75], v[14:15], v[24:25]
	v_fma_f64 v[24:25], v[16:17], 2.0, -v[76:77]
	v_add_f64 v[26:27], v[10:11], -v[26:27]
	v_fma_f64 v[46:47], v[46:47], 2.0, -v[64:65]
	v_fma_f64 v[6:7], v[0:1], 2.0, -v[66:67]
	v_add_f64 v[68:69], v[2:3], -v[8:9]
	v_fma_f64 v[0:1], v[42:43], s[0:1], v[30:31]
	v_fma_f64 v[22:23], v[14:15], 2.0, -v[74:75]
	v_fma_f64 v[10:11], v[10:11], 2.0, -v[26:27]
	v_fma_f64 v[14:15], v[62:63], s[2:3], v[54:55]
	v_fma_f64 v[8:9], v[2:3], 2.0, -v[68:69]
	v_fma_f64 v[2:3], v[44:45], s[0:1], v[32:33]
	v_fma_f64 v[70:71], v[44:45], s[2:3], v[0:1]
	;; [unrolled: 1-line block ×7, first 2 shown]
	v_fma_f64 v[30:31], v[30:31], 2.0, -v[70:71]
	v_fma_f64 v[32:33], v[32:33], 2.0, -v[72:73]
	v_fma_f64 v[78:79], v[60:61], s[0:1], v[2:3]
	v_fma_f64 v[42:43], v[52:53], 2.0, -v[58:59]
	v_add_f64 v[52:53], v[4:5], -v[12:13]
	v_add_f64 v[60:61], v[20:21], -v[26:27]
	v_fma_f64 v[44:45], v[50:51], 2.0, -v[78:79]
	v_add_f64 v[50:51], v[37:38], -v[10:11]
	v_fma_f64 v[2:3], v[4:5], 2.0, -v[52:53]
	v_fma_f64 v[4:5], v[46:47], s[0:1], v[34:35]
	v_fma_f64 v[10:11], v[48:49], s[0:1], v[40:41]
	v_fma_f64 v[16:17], v[20:21], 2.0, -v[60:61]
	v_fma_f64 v[0:1], v[37:38], 2.0, -v[50:51]
	v_add_f64 v[2:3], v[8:9], -v[2:3]
	v_fma_f64 v[37:38], v[48:49], s[2:3], v[4:5]
	v_fma_f64 v[46:47], v[46:47], s[0:1], v[10:11]
	;; [unrolled: 1-line block ×3, first 2 shown]
	v_add_f64 v[48:49], v[18:19], v[28:29]
	v_fma_f64 v[28:29], v[54:55], 2.0, -v[80:81]
	v_add_f64 v[0:1], v[6:7], -v[0:1]
	v_fma_f64 v[10:11], v[34:35], 2.0, -v[37:38]
	v_fma_f64 v[12:13], v[40:41], 2.0, -v[46:47]
	v_fma_f64 v[62:63], v[62:63], s[2:3], v[4:5]
	v_fma_f64 v[18:19], v[18:19], 2.0, -v[48:49]
	v_add_f64 v[34:35], v[68:69], -v[50:51]
	v_fma_f64 v[50:51], v[46:47], s[12:13], v[72:73]
	v_fma_f64 v[4:5], v[6:7], 2.0, -v[0:1]
	v_fma_f64 v[6:7], v[8:9], 2.0, -v[2:3]
	v_fma_f64 v[8:9], v[10:11], s[14:15], v[30:31]
	v_fma_f64 v[14:15], v[12:13], s[14:15], v[32:33]
	v_fma_f64 v[26:27], v[56:57], 2.0, -v[62:63]
	v_fma_f64 v[20:21], v[18:19], s[0:1], v[22:23]
	v_fma_f64 v[8:9], v[12:13], s[12:13], v[8:9]
	;; [unrolled: 1-line block ×3, first 2 shown]
	v_fma_f64 v[12:13], v[30:31], 2.0, -v[8:9]
	v_fma_f64 v[30:31], v[16:17], s[0:1], v[24:25]
	v_fma_f64 v[16:17], v[16:17], s[2:3], v[20:21]
	v_fma_f64 v[14:15], v[32:33], 2.0, -v[10:11]
	v_add_f64 v[32:33], v[66:67], v[52:53]
	v_fma_f64 v[18:19], v[18:19], s[0:1], v[30:31]
	v_fma_f64 v[30:31], v[28:29], s[4:5], v[44:45]
	v_fma_f64 v[20:21], v[22:23], 2.0, -v[16:17]
	v_fma_f64 v[40:41], v[66:67], 2.0, -v[32:33]
	;; [unrolled: 1-line block ×3, first 2 shown]
	v_fma_f64 v[24:25], v[26:27], s[4:5], v[42:43]
	v_fma_f64 v[26:27], v[26:27], s[14:15], v[30:31]
	;; [unrolled: 1-line block ×3, first 2 shown]
	v_fma_f64 v[30:31], v[44:45], 2.0, -v[26:27]
	v_fma_f64 v[44:45], v[37:38], s[12:13], v[70:71]
	v_fma_f64 v[28:29], v[42:43], 2.0, -v[24:25]
	v_fma_f64 v[42:43], v[68:69], 2.0, -v[34:35]
	v_fma_f64 v[44:45], v[46:47], s[16:17], v[44:45]
	v_fma_f64 v[46:47], v[37:38], s[14:15], v[50:51]
	;; [unrolled: 1-line block ×4, first 2 shown]
	v_fma_f64 v[64:65], v[70:71], 2.0, -v[44:45]
	v_fma_f64 v[66:67], v[72:73], 2.0, -v[46:47]
	v_fma_f64 v[68:69], v[60:61], s[2:3], v[37:38]
	v_fma_f64 v[70:71], v[48:49], s[0:1], v[50:51]
	;; [unrolled: 1-line block ×4, first 2 shown]
	v_fma_f64 v[72:73], v[74:75], 2.0, -v[68:69]
	v_fma_f64 v[74:75], v[76:77], 2.0, -v[70:71]
	v_fma_f64 v[60:61], v[80:81], s[12:13], v[37:38]
	v_fma_f64 v[62:63], v[62:63], s[4:5], v[48:49]
	v_fma_f64 v[76:77], v[58:59], 2.0, -v[60:61]
	v_fma_f64 v[78:79], v[78:79], 2.0, -v[62:63]
	ds_write_b128 v39, v[4:7]
	ds_write_b128 v39, v[12:15] offset:48
	ds_write_b128 v39, v[20:23] offset:96
	;; [unrolled: 1-line block ×15, first 2 shown]
	s_waitcnt lgkmcnt(0)
	; wave barrier
	s_waitcnt lgkmcnt(0)
	ds_read_b128 v[4:7], v36
	ds_read_b128 v[84:87], v36 offset:2304
	ds_read_b128 v[76:79], v36 offset:4608
	;; [unrolled: 1-line block ×14, first 2 shown]
	s_and_saveexec_b64 s[0:1], vcc
	s_cbranch_execz .LBB0_23
; %bb.22:
	ds_read_b128 v[60:63], v36 offset:2160
	ds_read_b128 v[228:231], v36 offset:4464
	;; [unrolled: 1-line block ×3, first 2 shown]
.LBB0_23:
	s_or_b64 exec, exec, s[0:1]
	s_waitcnt lgkmcnt(9)
	v_mul_f64 v[49:50], v[130:131], v[30:31]
	s_waitcnt lgkmcnt(7)
	v_mul_f64 v[55:56], v[142:143], v[32:33]
	;; [unrolled: 2-line block ×3, first 2 shown]
	v_mul_f64 v[37:38], v[126:127], v[86:87]
	v_mul_f64 v[41:42], v[122:123], v[78:79]
	;; [unrolled: 1-line block ×5, first 2 shown]
	v_fma_f64 v[28:29], v[128:129], v[28:29], v[49:50]
	v_mul_f64 v[49:50], v[138:139], v[20:21]
	v_fma_f64 v[34:35], v[140:141], v[34:35], -v[55:56]
	v_fma_f64 v[55:56], v[136:137], v[20:21], v[57:58]
	s_waitcnt lgkmcnt(3)
	v_mul_f64 v[20:21], v[146:147], v[14:15]
	v_mul_f64 v[39:40], v[126:127], v[84:85]
	;; [unrolled: 1-line block ×3, first 2 shown]
	v_fma_f64 v[37:38], v[124:125], v[84:85], v[37:38]
	v_fma_f64 v[41:42], v[120:121], v[76:77], v[41:42]
	s_waitcnt lgkmcnt(1)
	v_mul_f64 v[76:77], v[158:159], v[18:19]
	v_fma_f64 v[43:44], v[120:121], v[78:79], -v[43:44]
	v_fma_f64 v[30:31], v[128:129], v[30:31], -v[51:52]
	v_mul_f64 v[51:52], v[154:155], v[26:27]
	v_mul_f64 v[57:58], v[146:147], v[12:13]
	v_fma_f64 v[78:79], v[144:145], v[12:13], v[20:21]
	s_waitcnt lgkmcnt(0)
	v_mul_f64 v[12:13], v[150:151], v[8:9]
	v_mul_f64 v[45:46], v[134:135], v[82:83]
	v_fma_f64 v[39:40], v[124:125], v[86:87], -v[39:40]
	v_fma_f64 v[47:48], v[132:133], v[82:83], -v[47:48]
	;; [unrolled: 1-line block ×3, first 2 shown]
	v_mul_f64 v[22:23], v[158:159], v[16:17]
	v_fma_f64 v[82:83], v[156:157], v[16:17], v[76:77]
	v_add_f64 v[16:17], v[37:38], v[41:42]
	v_fma_f64 v[32:33], v[140:141], v[32:33], v[53:54]
	v_mul_f64 v[53:54], v[154:155], v[24:25]
	v_fma_f64 v[51:52], v[152:153], v[24:25], v[51:52]
	v_mul_f64 v[24:25], v[150:151], v[10:11]
	v_fma_f64 v[90:91], v[148:149], v[10:11], -v[12:13]
	v_add_f64 v[10:11], v[4:5], v[37:38]
	v_fma_f64 v[57:58], v[144:145], v[14:15], -v[57:58]
	v_mul_f64 v[14:15], v[166:167], v[230:231]
	v_mul_f64 v[20:21], v[162:163], v[232:233]
	v_fma_f64 v[12:13], v[16:17], -0.5, v[4:5]
	v_add_f64 v[16:17], v[39:40], v[43:44]
	v_fma_f64 v[88:89], v[148:149], v[8:9], v[24:25]
	v_mul_f64 v[8:9], v[166:167], v[228:229]
	v_add_f64 v[4:5], v[10:11], v[41:42]
	v_add_f64 v[10:11], v[6:7], v[39:40]
	v_fma_f64 v[92:93], v[164:165], v[228:229], v[14:15]
	v_add_f64 v[14:15], v[39:40], -v[43:44]
	v_fma_f64 v[98:99], v[160:161], v[234:235], -v[20:21]
	v_fma_f64 v[16:17], v[16:17], -0.5, v[6:7]
	v_add_f64 v[20:21], v[37:38], -v[41:42]
	s_mov_b32 s0, 0xe8584caa
	s_mov_b32 s1, 0xbfebb67a
	s_mov_b32 s3, 0x3febb67a
	s_mov_b32 s2, s0
	v_add_f64 v[6:7], v[10:11], v[43:44]
	v_fma_f64 v[94:95], v[164:165], v[230:231], -v[8:9]
	v_fma_f64 v[8:9], v[14:15], s[0:1], v[12:13]
	v_fma_f64 v[10:11], v[20:21], s[2:3], v[16:17]
	;; [unrolled: 1-line block ×4, first 2 shown]
	s_waitcnt lgkmcnt(0)
	; wave barrier
	ds_write_b128 v36, v[4:7]
	ds_write_b128 v36, v[8:11] offset:768
	ds_write_b128 v36, v[12:15] offset:1536
	buffer_load_dword v4, off, s[24:27], 0 offset:292 ; 4-byte Folded Reload
	v_fma_f64 v[45:46], v[132:133], v[80:81], v[45:46]
	v_fma_f64 v[86:87], v[156:157], v[18:19], -v[22:23]
	v_mul_f64 v[18:19], v[162:163], v[234:235]
	v_add_f64 v[24:25], v[47:48], v[30:31]
	v_fma_f64 v[53:54], v[152:153], v[26:27], -v[53:54]
	v_add_f64 v[26:27], v[47:48], -v[30:31]
	v_add_f64 v[37:38], v[2:3], v[47:48]
	v_add_f64 v[39:40], v[34:35], -v[49:50]
	v_add_f64 v[22:23], v[0:1], v[45:46]
	v_add_f64 v[41:42], v[51:52], v[78:79]
	v_fma_f64 v[96:97], v[160:161], v[232:233], v[18:19]
	v_add_f64 v[18:19], v[45:46], v[28:29]
	v_fma_f64 v[24:25], v[24:25], -0.5, v[2:3]
	v_add_f64 v[47:48], v[53:54], -v[57:58]
	v_add_f64 v[2:3], v[37:38], v[30:31]
	v_add_f64 v[30:31], v[34:35], v[49:50]
	;; [unrolled: 1-line block ×3, first 2 shown]
	v_fma_f64 v[41:42], v[41:42], -0.5, v[68:69]
	v_fma_f64 v[18:19], v[18:19], -0.5, v[0:1]
	v_add_f64 v[0:1], v[22:23], v[28:29]
	v_add_f64 v[28:29], v[45:46], -v[28:29]
	v_add_f64 v[22:23], v[32:33], v[55:56]
	v_fma_f64 v[43:44], v[30:31], -0.5, v[74:75]
	v_add_f64 v[45:46], v[32:33], -v[55:56]
	v_fma_f64 v[16:17], v[26:27], s[0:1], v[18:19]
	v_fma_f64 v[20:21], v[26:27], s[2:3], v[18:19]
	v_add_f64 v[26:27], v[72:73], v[32:33]
	v_fma_f64 v[18:19], v[28:29], s[2:3], v[24:25]
	v_fma_f64 v[37:38], v[22:23], -0.5, v[72:73]
	v_fma_f64 v[22:23], v[28:29], s[0:1], v[24:25]
	v_fma_f64 v[30:31], v[45:46], s[2:3], v[43:44]
	;; [unrolled: 1-line block ×3, first 2 shown]
	v_add_f64 v[24:25], v[26:27], v[55:56]
	v_add_f64 v[26:27], v[34:35], v[49:50]
	v_fma_f64 v[28:29], v[39:40], s[0:1], v[37:38]
	v_fma_f64 v[32:33], v[39:40], s[2:3], v[37:38]
	;; [unrolled: 1-line block ×3, first 2 shown]
	v_add_f64 v[37:38], v[53:54], v[57:58]
	v_add_f64 v[39:40], v[68:69], v[51:52]
	v_add_f64 v[45:46], v[70:71], v[53:54]
	v_add_f64 v[51:52], v[51:52], -v[78:79]
	v_fma_f64 v[43:44], v[47:48], s[0:1], v[41:42]
	v_add_f64 v[49:50], v[82:83], v[88:89]
	v_add_f64 v[55:56], v[86:87], -v[90:91]
	v_add_f64 v[47:48], v[86:87], v[90:91]
	v_fma_f64 v[37:38], v[37:38], -0.5, v[70:71]
	v_add_f64 v[39:40], v[39:40], v[78:79]
	v_add_f64 v[41:42], v[45:46], v[57:58]
	;; [unrolled: 1-line block ×3, first 2 shown]
	v_add_f64 v[57:58], v[94:95], -v[98:99]
	v_fma_f64 v[49:50], v[49:50], -0.5, v[64:65]
	v_add_f64 v[70:71], v[92:93], -v[96:97]
	v_fma_f64 v[47:48], v[47:48], -0.5, v[66:67]
	v_fma_f64 v[45:46], v[51:52], s[2:3], v[37:38]
	v_fma_f64 v[74:75], v[51:52], s[0:1], v[37:38]
	v_add_f64 v[37:38], v[92:93], v[96:97]
	s_waitcnt vmcnt(0)
	ds_write_b128 v4, v[0:3]
	ds_write_b128 v4, v[16:19] offset:768
	ds_write_b128 v4, v[20:23] offset:1536
	;; [unrolled: 1-line block ×3, first 2 shown]
	buffer_load_dword v0, off, s[24:27], 0 offset:304 ; 4-byte Folded Reload
	v_fma_f64 v[80:81], v[55:56], s[0:1], v[49:50]
	v_fma_f64 v[84:85], v[55:56], s[2:3], v[49:50]
	v_add_f64 v[49:50], v[94:95], v[98:99]
	v_add_f64 v[51:52], v[66:67], v[86:87]
	;; [unrolled: 1-line block ×3, first 2 shown]
	v_fma_f64 v[37:38], v[37:38], -0.5, v[60:61]
	v_add_f64 v[66:67], v[62:63], v[94:95]
	v_add_f64 v[76:77], v[53:54], v[88:89]
	v_add_f64 v[53:54], v[82:83], -v[88:89]
	s_waitcnt vmcnt(0)
	ds_write_b128 v0, v[28:31] offset:3072
	ds_write_b128 v36, v[32:35] offset:3936
	buffer_load_dword v0, off, s[24:27], 0 offset:296 ; 4-byte Folded Reload
	v_fma_f64 v[49:50], v[49:50], -0.5, v[62:63]
	v_add_f64 v[78:79], v[51:52], v[90:91]
	v_add_f64 v[60:61], v[55:56], v[96:97]
	v_fma_f64 v[64:65], v[57:58], s[0:1], v[37:38]
	v_fma_f64 v[68:69], v[57:58], s[2:3], v[37:38]
	v_add_f64 v[62:63], v[66:67], v[98:99]
	v_fma_f64 v[82:83], v[53:54], s[2:3], v[47:48]
	v_fma_f64 v[86:87], v[53:54], s[0:1], v[47:48]
	v_fma_f64 v[66:67], v[70:71], s[2:3], v[49:50]
	v_fma_f64 v[70:71], v[70:71], s[0:1], v[49:50]
	s_waitcnt vmcnt(0)
	ds_write_b128 v0, v[39:42]
	ds_write_b128 v0, v[43:46] offset:768
	ds_write_b128 v0, v[72:75] offset:1536
	buffer_load_dword v0, off, s[24:27], 0 offset:300 ; 4-byte Folded Reload
	s_waitcnt vmcnt(0)
	ds_write_b128 v0, v[76:79] offset:4608
	ds_write_b128 v0, v[80:83] offset:5376
	;; [unrolled: 1-line block ×3, first 2 shown]
	s_and_saveexec_b64 s[0:1], vcc
	s_cbranch_execz .LBB0_25
; %bb.24:
	buffer_load_dword v0, off, s[24:27], 0 offset:288 ; 4-byte Folded Reload
	buffer_load_dword v1, off, s[24:27], 0 offset:264 ; 4-byte Folded Reload
	s_waitcnt vmcnt(1)
	v_and_b32_e32 v0, 0xff, v0
	s_waitcnt vmcnt(0)
	v_lshl_add_u32 v0, v0, 4, v1
	ds_write_b128 v0, v[60:63] offset:4608
	ds_write_b128 v0, v[64:67] offset:5376
	;; [unrolled: 1-line block ×3, first 2 shown]
.LBB0_25:
	s_or_b64 exec, exec, s[0:1]
	s_waitcnt lgkmcnt(0)
	; wave barrier
	s_waitcnt lgkmcnt(0)
	ds_read_b128 v[8:11], v36
	ds_read_b128 v[4:7], v36 offset:432
	ds_read_b128 v[88:91], v36 offset:4608
	;; [unrolled: 1-line block ×14, first 2 shown]
	v_add_u32_e32 v38, 0x6c0, v168
	s_and_saveexec_b64 s[0:1], vcc
	s_cbranch_execz .LBB0_27
; %bb.26:
	ds_read_b128 v[60:63], v36 offset:2160
	ds_read_b128 v[64:67], v36 offset:4464
	;; [unrolled: 1-line block ×3, first 2 shown]
.LBB0_27:
	s_or_b64 exec, exec, s[0:1]
	s_waitcnt lgkmcnt(4)
	v_mul_f64 v[39:40], v[182:183], v[94:95]
	v_mul_f64 v[43:44], v[178:179], v[90:91]
	;; [unrolled: 1-line block ×9, first 2 shown]
	v_fma_f64 v[39:40], v[180:181], v[92:93], v[39:40]
	v_fma_f64 v[43:44], v[176:177], v[88:89], v[43:44]
	;; [unrolled: 1-line block ×3, first 2 shown]
	v_fma_f64 v[49:50], v[188:189], v[86:87], -v[49:50]
	v_mul_f64 v[57:58], v[198:199], v[24:25]
	v_fma_f64 v[32:33], v[184:185], v[32:33], v[51:52]
	v_mul_f64 v[51:52], v[194:195], v[30:31]
	v_mul_f64 v[84:85], v[194:195], v[28:29]
	s_waitcnt lgkmcnt(2)
	v_mul_f64 v[86:87], v[206:207], v[82:83]
	v_fma_f64 v[34:35], v[184:185], v[34:35], -v[53:54]
	v_mul_f64 v[53:54], v[206:207], v[80:81]
	v_fma_f64 v[55:56], v[196:197], v[24:25], v[55:56]
	v_mul_f64 v[24:25], v[202:203], v[22:23]
	v_fma_f64 v[41:42], v[180:181], v[94:95], -v[41:42]
	v_fma_f64 v[45:46], v[176:177], v[90:91], -v[45:46]
	;; [unrolled: 1-line block ×3, first 2 shown]
	v_fma_f64 v[28:29], v[192:193], v[28:29], v[51:52]
	v_fma_f64 v[30:31], v[192:193], v[30:31], -v[84:85]
	v_fma_f64 v[51:52], v[204:205], v[80:81], v[86:87]
	v_mul_f64 v[26:27], v[202:203], v[20:21]
	v_fma_f64 v[53:54], v[204:205], v[82:83], -v[53:54]
	s_waitcnt lgkmcnt(1)
	v_mul_f64 v[80:81], v[214:215], v[18:19]
	v_add_f64 v[82:83], v[39:40], v[43:44]
	v_fma_f64 v[84:85], v[200:201], v[20:21], v[24:25]
	v_mul_f64 v[20:21], v[214:215], v[16:17]
	s_waitcnt lgkmcnt(0)
	v_mul_f64 v[86:87], v[210:211], v[12:13]
	v_mul_f64 v[24:25], v[210:211], v[14:15]
	v_fma_f64 v[88:89], v[200:201], v[22:23], -v[26:27]
	v_add_f64 v[22:23], v[8:9], v[39:40]
	v_fma_f64 v[80:81], v[212:213], v[16:17], v[80:81]
	v_fma_f64 v[16:17], v[82:83], -0.5, v[8:9]
	v_add_f64 v[26:27], v[41:42], -v[45:46]
	v_fma_f64 v[82:83], v[212:213], v[18:19], -v[20:21]
	v_fma_f64 v[86:87], v[208:209], v[14:15], -v[86:87]
	v_add_f64 v[14:15], v[41:42], v[45:46]
	v_add_f64 v[18:19], v[10:11], v[41:42]
	s_mov_b32 s0, 0xe8584caa
	s_mov_b32 s1, 0xbfebb67a
	;; [unrolled: 1-line block ×3, first 2 shown]
	v_fma_f64 v[90:91], v[208:209], v[12:13], v[24:25]
	v_add_f64 v[8:9], v[22:23], v[43:44]
	v_fma_f64 v[12:13], v[26:27], s[0:1], v[16:17]
	v_add_f64 v[20:21], v[47:48], v[32:33]
	v_fma_f64 v[22:23], v[14:15], -0.5, v[10:11]
	v_add_f64 v[24:25], v[39:40], -v[43:44]
	v_fma_f64 v[16:17], v[26:27], s[2:3], v[16:17]
	v_add_f64 v[26:27], v[4:5], v[47:48]
	v_add_f64 v[10:11], v[18:19], v[45:46]
	;; [unrolled: 1-line block ×4, first 2 shown]
	v_fma_f64 v[41:42], v[20:21], -0.5, v[4:5]
	v_add_f64 v[43:44], v[49:50], -v[34:35]
	v_fma_f64 v[14:15], v[24:25], s[2:3], v[22:23]
	v_fma_f64 v[18:19], v[24:25], s[0:1], v[22:23]
	v_add_f64 v[4:5], v[26:27], v[32:33]
	v_add_f64 v[22:23], v[55:56], v[28:29]
	v_fma_f64 v[26:27], v[39:40], -0.5, v[6:7]
	v_add_f64 v[6:7], v[45:46], v[34:35]
	v_add_f64 v[45:46], v[51:52], v[84:85]
	v_add_f64 v[32:33], v[47:48], -v[32:33]
	v_fma_f64 v[20:21], v[43:44], s[0:1], v[41:42]
	v_fma_f64 v[24:25], v[43:44], s[2:3], v[41:42]
	v_add_f64 v[34:35], v[57:58], v[30:31]
	v_add_f64 v[39:40], v[0:1], v[55:56]
	v_fma_f64 v[41:42], v[22:23], -0.5, v[0:1]
	v_add_f64 v[43:44], v[57:58], -v[30:31]
	v_add_f64 v[47:48], v[2:3], v[57:58]
	v_add_f64 v[49:50], v[55:56], -v[28:29]
	v_fma_f64 v[45:46], v[45:46], -0.5, v[76:77]
	v_add_f64 v[55:56], v[53:54], -v[88:89]
	v_fma_f64 v[22:23], v[32:33], s[2:3], v[26:27]
	v_fma_f64 v[26:27], v[32:33], s[0:1], v[26:27]
	v_fma_f64 v[34:35], v[34:35], -0.5, v[2:3]
	v_add_f64 v[0:1], v[39:40], v[28:29]
	v_fma_f64 v[28:29], v[43:44], s[0:1], v[41:42]
	v_add_f64 v[39:40], v[76:77], v[51:52]
	v_fma_f64 v[32:33], v[43:44], s[2:3], v[41:42]
	v_add_f64 v[2:3], v[47:48], v[30:31]
	v_add_f64 v[41:42], v[53:54], v[88:89]
	;; [unrolled: 1-line block ×3, first 2 shown]
	v_fma_f64 v[43:44], v[55:56], s[0:1], v[45:46]
	v_fma_f64 v[76:77], v[55:56], s[2:3], v[45:46]
	v_add_f64 v[45:46], v[82:83], v[86:87]
	v_fma_f64 v[30:31], v[49:50], s[2:3], v[34:35]
	v_fma_f64 v[34:35], v[49:50], s[0:1], v[34:35]
	v_add_f64 v[49:50], v[78:79], v[53:54]
	v_fma_f64 v[53:54], v[41:42], -0.5, v[78:79]
	v_add_f64 v[51:52], v[51:52], -v[84:85]
	v_add_f64 v[55:56], v[72:73], v[80:81]
	v_fma_f64 v[47:48], v[47:48], -0.5, v[72:73]
	v_add_f64 v[57:58], v[82:83], -v[86:87]
	;; [unrolled: 3-line block ×3, first 2 shown]
	v_add_f64 v[39:40], v[39:40], v[84:85]
	v_add_f64 v[41:42], v[49:50], v[88:89]
	v_fma_f64 v[45:46], v[51:52], s[2:3], v[53:54]
	v_fma_f64 v[78:79], v[51:52], s[0:1], v[53:54]
	v_add_f64 v[72:73], v[55:56], v[90:91]
	v_fma_f64 v[80:81], v[57:58], s[0:1], v[47:48]
	v_fma_f64 v[84:85], v[57:58], s[2:3], v[47:48]
	;; [unrolled: 3-line block ×3, first 2 shown]
	ds_write_b128 v36, v[8:11]
	ds_write_b128 v36, v[12:15] offset:2304
	ds_write_b128 v36, v[16:19] offset:4608
	;; [unrolled: 1-line block ×14, first 2 shown]
	s_and_saveexec_b64 s[4:5], vcc
	s_cbranch_execz .LBB0_29
; %bb.28:
	buffer_load_dword v12, off, s[24:27], 0 offset:328 ; 4-byte Folded Reload
	buffer_load_dword v13, off, s[24:27], 0 offset:332 ; 4-byte Folded Reload
	;; [unrolled: 1-line block ×8, first 2 shown]
	s_waitcnt vmcnt(4)
	v_mul_f64 v[0:1], v[14:15], v[64:65]
	s_waitcnt vmcnt(0)
	v_mul_f64 v[2:3], v[10:11], v[68:69]
	v_mul_f64 v[4:5], v[14:15], v[66:67]
	;; [unrolled: 1-line block ×3, first 2 shown]
	v_fma_f64 v[0:1], v[12:13], v[66:67], -v[0:1]
	v_fma_f64 v[2:3], v[8:9], v[70:71], -v[2:3]
	v_fma_f64 v[4:5], v[12:13], v[64:65], v[4:5]
	v_fma_f64 v[6:7], v[8:9], v[68:69], v[6:7]
	v_add_f64 v[14:15], v[62:63], v[0:1]
	v_add_f64 v[8:9], v[0:1], v[2:3]
	v_add_f64 v[16:17], v[0:1], -v[2:3]
	v_add_f64 v[10:11], v[4:5], v[6:7]
	v_add_f64 v[12:13], v[4:5], -v[6:7]
	v_add_f64 v[4:5], v[60:61], v[4:5]
	v_add_f64 v[2:3], v[14:15], v[2:3]
	v_fma_f64 v[8:9], v[8:9], -0.5, v[62:63]
	v_fma_f64 v[18:19], v[10:11], -0.5, v[60:61]
	v_add_f64 v[0:1], v[4:5], v[6:7]
	v_fma_f64 v[6:7], v[12:13], s[0:1], v[8:9]
	v_fma_f64 v[10:11], v[12:13], s[2:3], v[8:9]
	;; [unrolled: 1-line block ×4, first 2 shown]
	ds_write_b128 v36, v[0:3] offset:2160
	ds_write_b128 v36, v[8:11] offset:4464
	;; [unrolled: 1-line block ×3, first 2 shown]
.LBB0_29:
	s_or_b64 exec, exec, s[4:5]
	buffer_load_dword v0, off, s[24:27], 0 offset:80 ; 4-byte Folded Reload
	buffer_load_dword v1, off, s[24:27], 0 offset:84 ; 4-byte Folded Reload
	s_waitcnt lgkmcnt(0)
	; wave barrier
	s_waitcnt lgkmcnt(0)
	s_mov_b32 s2, 0xbda12f68
	s_mov_b32 s3, 0x3f62f684
	v_mov_b32_e32 v24, s7
	ds_read_b128 v[4:7], v36 offset:432
	s_waitcnt vmcnt(1)
	v_mov_b32_e32 v11, v0
	s_waitcnt vmcnt(0)
	ds_read_b128 v[0:3], v36
	buffer_load_dword v20, off, s[24:27], 0 offset:248 ; 4-byte Folded Reload
	buffer_load_dword v21, off, s[24:27], 0 offset:252 ; 4-byte Folded Reload
	;; [unrolled: 1-line block ×4, first 2 shown]
	v_mad_u64_u32 v[16:17], s[0:1], s10, v11, 0
	v_mov_b32_e32 v8, v17
	s_waitcnt vmcnt(0) lgkmcnt(0)
	v_mul_f64 v[9:10], v[22:23], v[2:3]
	v_mad_u64_u32 v[11:12], s[0:1], s11, v11, v[8:9]
	v_mul_f64 v[12:13], v[22:23], v[0:1]
	v_fma_f64 v[8:9], v[20:21], v[0:1], v[9:10]
	buffer_load_dword v1, off, s[24:27], 0  ; 4-byte Folded Reload
	v_mov_b32_e32 v17, v11
	v_lshlrev_b64 v[16:17], 4, v[16:17]
	v_fma_f64 v[10:11], v[20:21], v[2:3], -v[12:13]
	v_mul_f64 v[8:9], v[8:9], s[2:3]
	v_mul_f64 v[10:11], v[10:11], s[2:3]
	s_waitcnt vmcnt(0)
	v_mad_u64_u32 v[18:19], s[0:1], s8, v1, 0
	v_mov_b32_e32 v0, v19
	v_mad_u64_u32 v[12:13], s[0:1], s9, v1, v[0:1]
	ds_read_b128 v[0:3], v36 offset:2304
	v_add_co_u32_e64 v32, s[0:1], s6, v16
	v_mov_b32_e32 v19, v12
	ds_read_b128 v[12:15], v36 offset:1728
	buffer_load_dword v25, off, s[24:27], 0 offset:16 ; 4-byte Folded Reload
	buffer_load_dword v26, off, s[24:27], 0 offset:20 ; 4-byte Folded Reload
	buffer_load_dword v27, off, s[24:27], 0 offset:24 ; 4-byte Folded Reload
	buffer_load_dword v28, off, s[24:27], 0 offset:28 ; 4-byte Folded Reload
	v_addc_co_u32_e64 v33, s[0:1], v24, v17, s[0:1]
	v_lshlrev_b64 v[16:17], 4, v[18:19]
	s_waitcnt vmcnt(0) lgkmcnt(1)
	v_mul_f64 v[20:21], v[27:28], v[2:3]
	v_mul_f64 v[22:23], v[27:28], v[0:1]
	v_fma_f64 v[0:1], v[25:26], v[0:1], v[20:21]
	v_add_co_u32_e64 v20, s[0:1], v32, v16
	v_addc_co_u32_e64 v21, s[0:1], v33, v17, s[0:1]
	global_store_dwordx4 v[20:21], v[8:11], off
	ds_read_b128 v[8:11], v36 offset:4608
	ds_read_b128 v[16:19], v36 offset:5040
	buffer_load_dword v28, off, s[24:27], 0 offset:32 ; 4-byte Folded Reload
	buffer_load_dword v29, off, s[24:27], 0 offset:36 ; 4-byte Folded Reload
	buffer_load_dword v30, off, s[24:27], 0 offset:40 ; 4-byte Folded Reload
	buffer_load_dword v31, off, s[24:27], 0 offset:44 ; 4-byte Folded Reload
	v_fma_f64 v[2:3], v[25:26], v[2:3], -v[22:23]
	s_mul_i32 s0, s9, 0x90
	s_mul_hi_u32 s1, s8, 0x90
	s_add_i32 s1, s1, s0
	s_mul_i32 s0, s8, 0x90
	s_lshl_b64 s[4:5], s[0:1], 4
	v_mul_f64 v[0:1], v[0:1], s[2:3]
	v_mov_b32_e32 v34, s5
	v_mul_f64 v[2:3], v[2:3], s[2:3]
	s_waitcnt vmcnt(0) lgkmcnt(1)
	v_mul_f64 v[22:23], v[30:31], v[10:11]
	v_mul_f64 v[24:25], v[30:31], v[8:9]
	buffer_load_dword v30, off, s[24:27], 0 offset:12 ; 4-byte Folded Reload
	buffer_load_dword v37, off, s[24:27], 0 offset:48 ; 4-byte Folded Reload
	;; [unrolled: 1-line block ×5, first 2 shown]
	v_fma_f64 v[8:9], v[28:29], v[8:9], v[22:23]
	v_fma_f64 v[10:11], v[28:29], v[10:11], -v[24:25]
	s_waitcnt vmcnt(4)
	v_mad_u64_u32 v[26:27], s[0:1], s8, v30, 0
	s_waitcnt vmcnt(0)
	v_mul_f64 v[23:24], v[39:40], v[6:7]
	v_add_co_u32_e64 v20, s[0:1], s4, v20
	v_mov_b32_e32 v22, v27
	v_addc_co_u32_e64 v21, s[0:1], v21, v34, s[0:1]
	v_mul_f64 v[28:29], v[39:40], v[4:5]
	global_store_dwordx4 v[20:21], v[0:3], off
	v_mad_u64_u32 v[30:31], s[0:1], s9, v30, v[22:23]
	v_mul_f64 v[0:1], v[8:9], s[2:3]
	v_mul_f64 v[2:3], v[10:11], s[2:3]
	v_mov_b32_e32 v27, v30
	v_lshlrev_b64 v[8:9], 4, v[26:27]
	v_fma_f64 v[22:23], v[37:38], v[4:5], v[23:24]
	v_add_co_u32_e64 v26, s[0:1], v32, v8
	v_fma_f64 v[24:25], v[37:38], v[6:7], -v[28:29]
	ds_read_b128 v[4:7], v36 offset:2736
	v_addc_co_u32_e64 v27, s[0:1], v33, v9, s[0:1]
	ds_read_b128 v[8:11], v36 offset:3168
	buffer_load_dword v30, off, s[24:27], 0 offset:152 ; 4-byte Folded Reload
	buffer_load_dword v31, off, s[24:27], 0 offset:156 ; 4-byte Folded Reload
	;; [unrolled: 1-line block ×4, first 2 shown]
	s_waitcnt vmcnt(0) lgkmcnt(1)
	v_mul_f64 v[28:29], v[32:33], v[6:7]
	global_store_dwordx4 v[26:27], v[0:3], off
	v_mul_f64 v[26:27], v[32:33], v[4:5]
	v_mul_f64 v[0:1], v[22:23], s[2:3]
	v_mov_b32_e32 v22, 0xfffff8b0
	v_mad_u64_u32 v[20:21], s[0:1], s8, v22, v[20:21]
	v_mul_f64 v[2:3], v[24:25], s[2:3]
	v_fma_f64 v[4:5], v[30:31], v[4:5], v[28:29]
	s_mul_i32 s0, s9, 0xfffff8b0
	v_fma_f64 v[22:23], v[30:31], v[6:7], -v[26:27]
	buffer_load_dword v28, off, s[24:27], 0 offset:64 ; 4-byte Folded Reload
	buffer_load_dword v29, off, s[24:27], 0 offset:68 ; 4-byte Folded Reload
	;; [unrolled: 1-line block ×4, first 2 shown]
	s_sub_i32 s0, s0, s8
	v_add_u32_e32 v21, s0, v21
	global_store_dwordx4 v[20:21], v[0:3], off
	s_nop 0
	v_mul_f64 v[0:1], v[4:5], s[2:3]
	ds_read_b128 v[4:7], v36 offset:864
	v_mul_f64 v[2:3], v[22:23], s[2:3]
	s_waitcnt vmcnt(1)
	v_mul_f64 v[24:25], v[30:31], v[18:19]
	v_mul_f64 v[26:27], v[30:31], v[16:17]
	v_add_co_u32_e64 v30, s[0:1], s4, v20
	v_addc_co_u32_e64 v31, s[0:1], v21, v34, s[0:1]
	v_fma_f64 v[22:23], v[28:29], v[16:17], v[24:25]
	v_fma_f64 v[24:25], v[28:29], v[18:19], -v[26:27]
	ds_read_b128 v[16:19], v36 offset:1296
	buffer_load_dword v37, off, s[24:27], 0 offset:88 ; 4-byte Folded Reload
	buffer_load_dword v38, off, s[24:27], 0 offset:92 ; 4-byte Folded Reload
	;; [unrolled: 1-line block ×4, first 2 shown]
	v_mul_f64 v[20:21], v[22:23], s[2:3]
	v_mul_f64 v[22:23], v[24:25], s[2:3]
	v_add_co_u32_e64 v24, s[0:1], s4, v30
	v_addc_co_u32_e64 v25, s[0:1], v31, v34, s[0:1]
	global_store_dwordx4 v[30:31], v[0:3], off
	s_mul_hi_u32 s1, s8, 0xfffffefb
	s_mul_i32 s0, s9, 0xfffffefb
	global_store_dwordx4 v[24:25], v[20:23], off
	s_sub_i32 s1, s1, s8
	s_add_i32 s1, s1, s0
	s_mul_i32 s0, s8, 0xfffffefb
	s_lshl_b64 s[6:7], s[0:1], 4
	v_mov_b32_e32 v30, s7
	v_add_co_u32_e64 v24, s[0:1], s6, v24
	v_addc_co_u32_e64 v25, s[0:1], v25, v30, s[0:1]
	s_waitcnt vmcnt(2) lgkmcnt(1)
	v_mul_f64 v[26:27], v[39:40], v[6:7]
	v_mul_f64 v[28:29], v[39:40], v[4:5]
	v_fma_f64 v[4:5], v[37:38], v[4:5], v[26:27]
	v_fma_f64 v[6:7], v[37:38], v[6:7], -v[28:29]
	buffer_load_dword v26, off, s[24:27], 0 offset:104 ; 4-byte Folded Reload
	buffer_load_dword v27, off, s[24:27], 0 offset:108 ; 4-byte Folded Reload
	;; [unrolled: 1-line block ×4, first 2 shown]
	v_mul_f64 v[0:1], v[4:5], s[2:3]
	v_mul_f64 v[2:3], v[6:7], s[2:3]
	ds_read_b128 v[4:7], v36 offset:5472
	s_waitcnt vmcnt(0)
	v_mul_f64 v[20:21], v[28:29], v[10:11]
	v_mul_f64 v[22:23], v[28:29], v[8:9]
	v_fma_f64 v[20:21], v[26:27], v[8:9], v[20:21]
	v_fma_f64 v[22:23], v[26:27], v[10:11], -v[22:23]
	ds_read_b128 v[8:11], v36 offset:5904
	buffer_load_dword v37, off, s[24:27], 0 offset:120 ; 4-byte Folded Reload
	buffer_load_dword v38, off, s[24:27], 0 offset:124 ; 4-byte Folded Reload
	;; [unrolled: 1-line block ×4, first 2 shown]
	s_waitcnt vmcnt(0) lgkmcnt(1)
	v_mul_f64 v[26:27], v[39:40], v[6:7]
	v_mul_f64 v[28:29], v[39:40], v[4:5]
	global_store_dwordx4 v[24:25], v[0:3], off
	v_add_co_u32_e64 v24, s[0:1], s4, v24
	v_mul_f64 v[0:1], v[20:21], s[2:3]
	v_mul_f64 v[2:3], v[22:23], s[2:3]
	v_addc_co_u32_e64 v25, s[0:1], v25, v34, s[0:1]
	v_fma_f64 v[4:5], v[37:38], v[4:5], v[26:27]
	v_fma_f64 v[20:21], v[37:38], v[6:7], -v[28:29]
	buffer_load_dword v37, off, s[24:27], 0 offset:168 ; 4-byte Folded Reload
	buffer_load_dword v38, off, s[24:27], 0 offset:172 ; 4-byte Folded Reload
	;; [unrolled: 1-line block ×4, first 2 shown]
	s_waitcnt vmcnt(0)
	v_mul_f64 v[22:23], v[39:40], v[18:19]
	v_mul_f64 v[26:27], v[39:40], v[16:17]
	global_store_dwordx4 v[24:25], v[0:3], off
	v_add_co_u32_e64 v24, s[0:1], s4, v24
	v_mul_f64 v[0:1], v[4:5], s[2:3]
	ds_read_b128 v[4:7], v36 offset:3600
	v_mul_f64 v[2:3], v[20:21], s[2:3]
	v_fma_f64 v[20:21], v[37:38], v[16:17], v[22:23]
	v_fma_f64 v[22:23], v[37:38], v[18:19], -v[26:27]
	ds_read_b128 v[16:19], v36 offset:4032
	buffer_load_dword v37, off, s[24:27], 0 offset:136 ; 4-byte Folded Reload
	buffer_load_dword v38, off, s[24:27], 0 offset:140 ; 4-byte Folded Reload
	;; [unrolled: 1-line block ×4, first 2 shown]
	v_addc_co_u32_e64 v25, s[0:1], v25, v34, s[0:1]
	global_store_dwordx4 v[24:25], v[0:3], off
	s_nop 0
	v_mul_f64 v[0:1], v[20:21], s[2:3]
	v_mul_f64 v[2:3], v[22:23], s[2:3]
	v_add_co_u32_e64 v24, s[0:1], s6, v24
	v_addc_co_u32_e64 v25, s[0:1], v25, v30, s[0:1]
	s_waitcnt vmcnt(1) lgkmcnt(1)
	v_mul_f64 v[26:27], v[39:40], v[6:7]
	v_mul_f64 v[28:29], v[39:40], v[4:5]
	v_fma_f64 v[4:5], v[37:38], v[4:5], v[26:27]
	v_fma_f64 v[6:7], v[37:38], v[6:7], -v[28:29]
	buffer_load_dword v26, off, s[24:27], 0 offset:200 ; 4-byte Folded Reload
	buffer_load_dword v27, off, s[24:27], 0 offset:204 ; 4-byte Folded Reload
	;; [unrolled: 1-line block ×4, first 2 shown]
	s_waitcnt vmcnt(0)
	v_mul_f64 v[20:21], v[28:29], v[10:11]
	v_mul_f64 v[22:23], v[28:29], v[8:9]
	global_store_dwordx4 v[24:25], v[0:3], off
	s_nop 0
	v_mul_f64 v[0:1], v[4:5], s[2:3]
	v_mul_f64 v[2:3], v[6:7], s[2:3]
	v_fma_f64 v[4:5], v[26:27], v[8:9], v[20:21]
	v_fma_f64 v[6:7], v[26:27], v[10:11], -v[22:23]
	buffer_load_dword v26, off, s[24:27], 0 offset:184 ; 4-byte Folded Reload
	buffer_load_dword v27, off, s[24:27], 0 offset:188 ; 4-byte Folded Reload
	;; [unrolled: 1-line block ×4, first 2 shown]
	v_add_co_u32_e64 v20, s[0:1], s4, v24
	v_addc_co_u32_e64 v21, s[0:1], v25, v34, s[0:1]
	global_store_dwordx4 v[20:21], v[0:3], off
	v_add_co_u32_e64 v20, s[0:1], s4, v20
	v_mul_f64 v[0:1], v[4:5], s[2:3]
	v_mul_f64 v[2:3], v[6:7], s[2:3]
	ds_read_b128 v[4:7], v36 offset:6336
	v_addc_co_u32_e64 v21, s[0:1], v21, v34, s[0:1]
	s_waitcnt vmcnt(1)
	v_mul_f64 v[8:9], v[28:29], v[14:15]
	v_mul_f64 v[10:11], v[28:29], v[12:13]
	v_fma_f64 v[8:9], v[26:27], v[12:13], v[8:9]
	v_fma_f64 v[10:11], v[26:27], v[14:15], -v[10:11]
	buffer_load_dword v26, off, s[24:27], 0 offset:216 ; 4-byte Folded Reload
	buffer_load_dword v27, off, s[24:27], 0 offset:220 ; 4-byte Folded Reload
	;; [unrolled: 1-line block ×8, first 2 shown]
	s_waitcnt vmcnt(4) lgkmcnt(1)
	v_mul_f64 v[12:13], v[28:29], v[18:19]
	v_mul_f64 v[14:15], v[28:29], v[16:17]
	s_waitcnt vmcnt(0) lgkmcnt(0)
	v_mul_f64 v[22:23], v[39:40], v[6:7]
	v_mul_f64 v[24:25], v[39:40], v[4:5]
	global_store_dwordx4 v[20:21], v[0:3], off
	s_nop 0
	v_mul_f64 v[0:1], v[8:9], s[2:3]
	v_mul_f64 v[2:3], v[10:11], s[2:3]
	v_fma_f64 v[8:9], v[26:27], v[16:17], v[12:13]
	v_fma_f64 v[10:11], v[26:27], v[18:19], -v[14:15]
	v_fma_f64 v[12:13], v[37:38], v[4:5], v[22:23]
	v_fma_f64 v[14:15], v[37:38], v[6:7], -v[24:25]
	v_add_co_u32_e64 v16, s[0:1], s6, v20
	v_addc_co_u32_e64 v17, s[0:1], v21, v30, s[0:1]
	v_mul_f64 v[4:5], v[8:9], s[2:3]
	v_mul_f64 v[6:7], v[10:11], s[2:3]
	;; [unrolled: 1-line block ×4, first 2 shown]
	global_store_dwordx4 v[16:17], v[0:3], off
	s_nop 0
	v_add_co_u32_e64 v0, s[0:1], s4, v16
	v_addc_co_u32_e64 v1, s[0:1], v17, v34, s[0:1]
	global_store_dwordx4 v[0:1], v[4:7], off
	v_add_co_u32_e64 v0, s[0:1], s4, v0
	v_addc_co_u32_e64 v1, s[0:1], v1, v34, s[0:1]
	global_store_dwordx4 v[0:1], v[8:11], off
	s_and_b64 exec, exec, vcc
	s_cbranch_execz .LBB0_31
; %bb.30:
	buffer_load_dword v16, off, s[24:27], 0 offset:4 ; 4-byte Folded Reload
	buffer_load_dword v17, off, s[24:27], 0 offset:8 ; 4-byte Folded Reload
	s_movk_i32 s0, 0x1000
	s_waitcnt vmcnt(0)
	global_load_dwordx4 v[2:5], v[16:17], off offset:2160
	ds_read_b128 v[6:9], v36 offset:2160
	ds_read_b128 v[10:13], v36 offset:4464
	s_waitcnt vmcnt(0) lgkmcnt(1)
	v_mul_f64 v[14:15], v[8:9], v[4:5]
	v_mul_f64 v[4:5], v[6:7], v[4:5]
	v_fma_f64 v[6:7], v[6:7], v[2:3], v[14:15]
	v_fma_f64 v[4:5], v[2:3], v[8:9], -v[4:5]
	v_mov_b32_e32 v8, s7
	v_mul_f64 v[2:3], v[6:7], s[2:3]
	v_mul_f64 v[4:5], v[4:5], s[2:3]
	v_add_co_u32_e32 v6, vcc, s6, v0
	v_addc_co_u32_e32 v7, vcc, v1, v8, vcc
	v_add_co_u32_e32 v8, vcc, s0, v16
	v_addc_co_u32_e32 v9, vcc, 0, v17, vcc
	global_store_dwordx4 v[6:7], v[2:5], off
	global_load_dwordx4 v[0:3], v[8:9], off offset:368
	s_waitcnt vmcnt(0) lgkmcnt(0)
	v_mul_f64 v[4:5], v[12:13], v[2:3]
	v_mul_f64 v[2:3], v[10:11], v[2:3]
	v_fma_f64 v[4:5], v[10:11], v[0:1], v[4:5]
	v_fma_f64 v[2:3], v[0:1], v[12:13], -v[2:3]
	v_mov_b32_e32 v12, s5
	v_add_co_u32_e32 v10, vcc, s4, v6
	v_addc_co_u32_e32 v11, vcc, v7, v12, vcc
	v_mul_f64 v[0:1], v[4:5], s[2:3]
	v_mul_f64 v[2:3], v[2:3], s[2:3]
	ds_read_b128 v[4:7], v36 offset:6768
	global_store_dwordx4 v[10:11], v[0:3], off
	global_load_dwordx4 v[0:3], v[8:9], off offset:2672
	s_waitcnt vmcnt(0) lgkmcnt(0)
	v_mul_f64 v[8:9], v[6:7], v[2:3]
	v_mul_f64 v[2:3], v[4:5], v[2:3]
	v_fma_f64 v[4:5], v[4:5], v[0:1], v[8:9]
	v_fma_f64 v[2:3], v[0:1], v[6:7], -v[2:3]
	v_mul_f64 v[0:1], v[4:5], s[2:3]
	v_mul_f64 v[2:3], v[2:3], s[2:3]
	v_add_co_u32_e32 v4, vcc, s4, v10
	v_addc_co_u32_e32 v5, vcc, v11, v12, vcc
	global_store_dwordx4 v[4:5], v[0:3], off
.LBB0_31:
	s_endpgm
	.section	.rodata,"a",@progbits
	.p2align	6, 0x0
	.amdhsa_kernel bluestein_single_fwd_len432_dim1_dp_op_CI_CI
		.amdhsa_group_segment_fixed_size 13824
		.amdhsa_private_segment_fixed_size 348
		.amdhsa_kernarg_size 104
		.amdhsa_user_sgpr_count 6
		.amdhsa_user_sgpr_private_segment_buffer 1
		.amdhsa_user_sgpr_dispatch_ptr 0
		.amdhsa_user_sgpr_queue_ptr 0
		.amdhsa_user_sgpr_kernarg_segment_ptr 1
		.amdhsa_user_sgpr_dispatch_id 0
		.amdhsa_user_sgpr_flat_scratch_init 0
		.amdhsa_user_sgpr_private_segment_size 0
		.amdhsa_uses_dynamic_stack 0
		.amdhsa_system_sgpr_private_segment_wavefront_offset 1
		.amdhsa_system_sgpr_workgroup_id_x 1
		.amdhsa_system_sgpr_workgroup_id_y 0
		.amdhsa_system_sgpr_workgroup_id_z 0
		.amdhsa_system_sgpr_workgroup_info 0
		.amdhsa_system_vgpr_workitem_id 0
		.amdhsa_next_free_vgpr 256
		.amdhsa_next_free_sgpr 28
		.amdhsa_reserve_vcc 1
		.amdhsa_reserve_flat_scratch 0
		.amdhsa_float_round_mode_32 0
		.amdhsa_float_round_mode_16_64 0
		.amdhsa_float_denorm_mode_32 3
		.amdhsa_float_denorm_mode_16_64 3
		.amdhsa_dx10_clamp 1
		.amdhsa_ieee_mode 1
		.amdhsa_fp16_overflow 0
		.amdhsa_exception_fp_ieee_invalid_op 0
		.amdhsa_exception_fp_denorm_src 0
		.amdhsa_exception_fp_ieee_div_zero 0
		.amdhsa_exception_fp_ieee_overflow 0
		.amdhsa_exception_fp_ieee_underflow 0
		.amdhsa_exception_fp_ieee_inexact 0
		.amdhsa_exception_int_div_zero 0
	.end_amdhsa_kernel
	.text
.Lfunc_end0:
	.size	bluestein_single_fwd_len432_dim1_dp_op_CI_CI, .Lfunc_end0-bluestein_single_fwd_len432_dim1_dp_op_CI_CI
                                        ; -- End function
	.section	.AMDGPU.csdata,"",@progbits
; Kernel info:
; codeLenInByte = 19020
; NumSgprs: 32
; NumVgprs: 256
; ScratchSize: 348
; MemoryBound: 0
; FloatMode: 240
; IeeeMode: 1
; LDSByteSize: 13824 bytes/workgroup (compile time only)
; SGPRBlocks: 3
; VGPRBlocks: 63
; NumSGPRsForWavesPerEU: 32
; NumVGPRsForWavesPerEU: 256
; Occupancy: 1
; WaveLimiterHint : 1
; COMPUTE_PGM_RSRC2:SCRATCH_EN: 1
; COMPUTE_PGM_RSRC2:USER_SGPR: 6
; COMPUTE_PGM_RSRC2:TRAP_HANDLER: 0
; COMPUTE_PGM_RSRC2:TGID_X_EN: 1
; COMPUTE_PGM_RSRC2:TGID_Y_EN: 0
; COMPUTE_PGM_RSRC2:TGID_Z_EN: 0
; COMPUTE_PGM_RSRC2:TIDIG_COMP_CNT: 0
	.type	__hip_cuid_47e044686c086b5a,@object ; @__hip_cuid_47e044686c086b5a
	.section	.bss,"aw",@nobits
	.globl	__hip_cuid_47e044686c086b5a
__hip_cuid_47e044686c086b5a:
	.byte	0                               ; 0x0
	.size	__hip_cuid_47e044686c086b5a, 1

	.ident	"AMD clang version 19.0.0git (https://github.com/RadeonOpenCompute/llvm-project roc-6.4.0 25133 c7fe45cf4b819c5991fe208aaa96edf142730f1d)"
	.section	".note.GNU-stack","",@progbits
	.addrsig
	.addrsig_sym __hip_cuid_47e044686c086b5a
	.amdgpu_metadata
---
amdhsa.kernels:
  - .args:
      - .actual_access:  read_only
        .address_space:  global
        .offset:         0
        .size:           8
        .value_kind:     global_buffer
      - .actual_access:  read_only
        .address_space:  global
        .offset:         8
        .size:           8
        .value_kind:     global_buffer
      - .actual_access:  read_only
        .address_space:  global
        .offset:         16
        .size:           8
        .value_kind:     global_buffer
      - .actual_access:  read_only
        .address_space:  global
        .offset:         24
        .size:           8
        .value_kind:     global_buffer
      - .actual_access:  read_only
        .address_space:  global
        .offset:         32
        .size:           8
        .value_kind:     global_buffer
      - .offset:         40
        .size:           8
        .value_kind:     by_value
      - .address_space:  global
        .offset:         48
        .size:           8
        .value_kind:     global_buffer
      - .address_space:  global
        .offset:         56
        .size:           8
        .value_kind:     global_buffer
      - .address_space:  global
        .offset:         64
        .size:           8
        .value_kind:     global_buffer
      - .address_space:  global
        .offset:         72
        .size:           8
        .value_kind:     global_buffer
      - .offset:         80
        .size:           4
        .value_kind:     by_value
      - .address_space:  global
        .offset:         88
        .size:           8
        .value_kind:     global_buffer
      - .address_space:  global
        .offset:         96
        .size:           8
        .value_kind:     global_buffer
    .group_segment_fixed_size: 13824
    .kernarg_segment_align: 8
    .kernarg_segment_size: 104
    .language:       OpenCL C
    .language_version:
      - 2
      - 0
    .max_flat_workgroup_size: 54
    .name:           bluestein_single_fwd_len432_dim1_dp_op_CI_CI
    .private_segment_fixed_size: 348
    .sgpr_count:     32
    .sgpr_spill_count: 0
    .symbol:         bluestein_single_fwd_len432_dim1_dp_op_CI_CI.kd
    .uniform_work_group_size: 1
    .uses_dynamic_stack: false
    .vgpr_count:     256
    .vgpr_spill_count: 86
    .wavefront_size: 64
amdhsa.target:   amdgcn-amd-amdhsa--gfx906
amdhsa.version:
  - 1
  - 2
...

	.end_amdgpu_metadata
